;; amdgpu-corpus repo=ROCm/rocFFT kind=compiled arch=gfx950 opt=O3
	.text
	.amdgcn_target "amdgcn-amd-amdhsa--gfx950"
	.amdhsa_code_object_version 6
	.protected	bluestein_single_fwd_len1122_dim1_sp_op_CI_CI ; -- Begin function bluestein_single_fwd_len1122_dim1_sp_op_CI_CI
	.globl	bluestein_single_fwd_len1122_dim1_sp_op_CI_CI
	.p2align	8
	.type	bluestein_single_fwd_len1122_dim1_sp_op_CI_CI,@function
bluestein_single_fwd_len1122_dim1_sp_op_CI_CI: ; @bluestein_single_fwd_len1122_dim1_sp_op_CI_CI
; %bb.0:
	s_load_dwordx4 s[4:7], s[0:1], 0x28
	v_mul_u32_u24_e32 v1, 0x283, v0
	v_lshrrev_b32_e32 v1, 16, v1
	v_lshl_add_u32 v184, s2, 1, v1
	v_mov_b32_e32 v185, 0
	s_waitcnt lgkmcnt(0)
	v_cmp_gt_u64_e32 vcc, s[4:5], v[184:185]
	s_and_saveexec_b64 s[2:3], vcc
	s_cbranch_execz .LBB0_23
; %bb.1:
	s_load_dwordx2 s[12:13], s[0:1], 0x0
	s_load_dwordx2 s[14:15], s[0:1], 0x38
	v_mul_lo_u16_e32 v2, 0x66, v1
	v_sub_u16_e32 v185, v0, v2
	v_and_b32_e32 v0, 1, v1
	v_mov_b32_e32 v1, 0x462
	v_cmp_eq_u32_e32 vcc, 1, v0
	s_movk_i32 s2, 0x42
	v_cmp_gt_u16_e64 s[4:5], s2, v185
	v_cndmask_b32_e32 v191, 0, v1, vcc
	v_lshlrev_b32_e32 v70, 3, v185
	v_lshlrev_b32_e32 v190, 3, v191
	s_and_saveexec_b64 s[2:3], s[4:5]
	s_cbranch_execz .LBB0_3
; %bb.2:
	s_load_dwordx2 s[8:9], s[0:1], 0x18
	v_mov_b32_e32 v0, s6
	v_mov_b32_e32 v1, s7
	;; [unrolled: 1-line block ×4, first 2 shown]
	s_waitcnt lgkmcnt(0)
	s_load_dwordx4 s[8:11], s[8:9], 0x0
	v_lshl_add_u64 v[28:29], s[12:13], 0, v[70:71]
	v_lshl_add_u32 v73, v185, 3, v190
	v_add_u32_e32 v71, v190, v70
	s_waitcnt lgkmcnt(0)
	v_mad_u64_u32 v[2:3], s[6:7], s10, v184, 0
	v_mad_u64_u32 v[4:5], s[6:7], s8, v185, 0
	v_mov_b32_e32 v6, v3
	v_mov_b32_e32 v8, v5
	v_mad_u64_u32 v[6:7], s[6:7], s11, v184, v[6:7]
	v_mov_b32_e32 v3, v6
	v_mad_u64_u32 v[6:7], s[6:7], s9, v185, v[8:9]
	v_mov_b32_e32 v5, v6
	v_lshl_add_u64 v[0:1], v[2:3], 3, v[0:1]
	v_lshl_add_u64 v[2:3], v[4:5], 3, v[0:1]
	v_mad_u64_u32 v[16:17], s[6:7], s8, v72, v[2:3]
	s_mul_i32 s6, s9, 0x210
	s_nop 0
	v_add_u32_e32 v17, s6, v17
	v_mad_u64_u32 v[18:19], s[10:11], s8, v72, v[16:17]
	v_add_u32_e32 v19, s6, v19
	v_mad_u64_u32 v[20:21], s[10:11], s8, v72, v[18:19]
	;; [unrolled: 2-line block ×3, first 2 shown]
	v_add_u32_e32 v25, s6, v25
	global_load_dwordx2 v[0:1], v[2:3], off
	global_load_dwordx2 v[6:7], v70, s[12:13]
	s_nop 0
	global_load_dwordx2 v[2:3], v70, s[12:13] offset:528
	global_load_dwordx2 v[4:5], v70, s[12:13] offset:1056
	global_load_dwordx2 v[14:15], v[16:17], off
	global_load_dwordx2 v[12:13], v[18:19], off
	;; [unrolled: 1-line block ×4, first 2 shown]
	v_mad_u64_u32 v[24:25], s[10:11], s8, v72, v[24:25]
	v_add_u32_e32 v25, s6, v25
	global_load_dwordx2 v[18:19], v70, s[12:13] offset:1584
	global_load_dwordx2 v[16:17], v70, s[12:13] offset:2112
	;; [unrolled: 1-line block ×5, first 2 shown]
	global_load_dwordx2 v[32:33], v[24:25], off
	v_mad_u64_u32 v[24:25], s[10:11], s8, v72, v[24:25]
	v_add_u32_e32 v25, s6, v25
	global_load_dwordx2 v[34:35], v[24:25], off
	v_mad_u64_u32 v[24:25], s[10:11], s8, v72, v[24:25]
	v_add_u32_e32 v25, s6, v25
	s_movk_i32 s7, 0x1000
	global_load_dwordx2 v[36:37], v[24:25], off
	v_mad_u64_u32 v[24:25], s[10:11], s8, v72, v[24:25]
	v_add_co_u32_e32 v30, vcc, s7, v28
	v_add_u32_e32 v25, s6, v25
	s_nop 0
	v_addc_co_u32_e32 v31, vcc, 0, v29, vcc
	global_load_dwordx2 v[38:39], v[24:25], off
	global_load_dwordx2 v[40:41], v[30:31], off offset:128
	v_mad_u64_u32 v[24:25], s[10:11], s8, v72, v[24:25]
	v_add_u32_e32 v25, s6, v25
	global_load_dwordx2 v[42:43], v[24:25], off
	global_load_dwordx2 v[44:45], v[30:31], off offset:656
	v_mad_u64_u32 v[24:25], s[10:11], s8, v72, v[24:25]
	v_add_u32_e32 v25, s6, v25
	;; [unrolled: 4-line block ×5, first 2 shown]
	global_load_dwordx2 v[58:59], v[24:25], off
	global_load_dwordx2 v[60:61], v[30:31], off offset:2768
	v_mad_u64_u32 v[24:25], s[10:11], s8, v72, v[24:25]
	v_add_co_u32_e32 v28, vcc, 0x2000, v28
	v_add_u32_e32 v25, s6, v25
	s_nop 0
	v_addc_co_u32_e32 v29, vcc, 0, v29, vcc
	global_load_dwordx2 v[62:63], v[24:25], off
	global_load_dwordx2 v[64:65], v[30:31], off offset:3296
	global_load_dwordx2 v[66:67], v[28:29], off offset:256
	v_mad_u64_u32 v[24:25], s[10:11], s8, v72, v[24:25]
	v_add_u32_e32 v25, s6, v25
	global_load_dwordx2 v[28:29], v[24:25], off
	global_load_dwordx2 v[68:69], v[30:31], off offset:3824
	v_mad_u64_u32 v[24:25], s[8:9], s8, v72, v[24:25]
	v_add_u32_e32 v25, s6, v25
	global_load_dwordx2 v[24:25], v[24:25], off
	s_waitcnt vmcnt(32)
	v_mul_f32_e32 v30, v1, v7
	v_mul_f32_e32 v7, v0, v7
	v_fmac_f32_e32 v30, v0, v6
	v_fma_f32 v31, v1, v6, -v7
	s_waitcnt vmcnt(29)
	v_mul_f32_e32 v0, v15, v3
	v_mul_f32_e32 v1, v14, v3
	v_fmac_f32_e32 v0, v14, v2
	v_fma_f32 v1, v15, v2, -v1
	;; [unrolled: 5-line block ×3, first 2 shown]
	ds_write_b64 v73, v[30:31]
	ds_write2_b64 v71, v[0:1], v[2:3] offset0:66 offset1:132
	s_waitcnt vmcnt(25)
	v_mul_f32_e32 v0, v11, v19
	v_mul_f32_e32 v1, v10, v19
	s_waitcnt vmcnt(24)
	v_mul_f32_e32 v2, v9, v17
	v_mul_f32_e32 v3, v8, v17
	v_fmac_f32_e32 v0, v10, v18
	v_fma_f32 v1, v11, v18, -v1
	v_fmac_f32_e32 v2, v8, v16
	v_fma_f32 v3, v9, v16, -v3
	v_add_u32_e32 v4, 0x400, v71
	ds_write2_b64 v4, v[0:1], v[2:3] offset0:70 offset1:136
	s_waitcnt vmcnt(20)
	v_mul_f32_e32 v0, v33, v21
	v_mul_f32_e32 v1, v32, v21
	s_waitcnt vmcnt(19)
	v_mul_f32_e32 v2, v35, v23
	v_mul_f32_e32 v3, v34, v23
	v_fmac_f32_e32 v0, v32, v20
	v_fma_f32 v1, v33, v20, -v1
	v_fmac_f32_e32 v2, v34, v22
	v_fma_f32 v3, v35, v22, -v3
	v_add_u32_e32 v4, 0x800, v71
	;; [unrolled: 12-line block ×7, first 2 shown]
	ds_write2_b64 v4, v[0:1], v[2:3] offset0:94 offset1:160
.LBB0_3:
	s_or_b64 exec, exec, s[2:3]
	s_load_dwordx2 s[2:3], s[0:1], 0x20
	s_load_dwordx2 s[6:7], s[0:1], 0x8
	v_mov_b32_e32 v0, 0
	v_mov_b32_e32 v1, 0
	s_waitcnt lgkmcnt(0)
	s_barrier
	s_waitcnt lgkmcnt(0)
                                        ; implicit-def: $vgpr6
                                        ; implicit-def: $vgpr12
                                        ; implicit-def: $vgpr10
                                        ; implicit-def: $vgpr20
                                        ; implicit-def: $vgpr18
                                        ; implicit-def: $vgpr30
                                        ; implicit-def: $vgpr24
                                        ; implicit-def: $vgpr50
	s_and_saveexec_b64 s[0:1], s[4:5]
	s_cbranch_execz .LBB0_5
; %bb.4:
	v_lshl_add_u32 v32, v191, 3, v70
	v_add_u32_e32 v4, 0x800, v32
	v_add_u32_e32 v12, 0x1000, v32
	;; [unrolled: 1-line block ×3, first 2 shown]
	ds_read2_b64 v[0:3], v32 offset1:66
	ds_read2_b64 v[24:27], v32 offset0:132 offset1:198
	ds_read2_b64 v[16:19], v4 offset0:8 offset1:74
	;; [unrolled: 1-line block ×7, first 2 shown]
	ds_read_b64 v[50:51], v32 offset:8448
.LBB0_5:
	s_or_b64 exec, exec, s[0:1]
	s_waitcnt lgkmcnt(0)
	v_pk_add_f32 v[44:45], v[2:3], v[50:51] neg_lo:[0,1] neg_hi:[0,1]
	s_mov_b32 s46, 0xbf2c7751
	v_pk_add_f32 v[32:33], v[50:51], v[2:3]
	v_pk_add_f32 v[48:49], v[24:25], v[30:31] neg_lo:[0,1] neg_hi:[0,1]
	s_mov_b32 s8, 0x3f3d2fb0
	v_pk_mul_f32 v[36:37], v[44:45], s[46:47] op_sel_hi:[1,0]
	s_mov_b32 s20, 0xbf7ee86f
	v_pk_add_f32 v[34:35], v[30:31], v[24:25]
	v_pk_fma_f32 v[40:41], v[32:33], s[8:9], v[36:37] op_sel:[0,0,1] op_sel_hi:[1,0,0]
	v_pk_fma_f32 v[62:63], v[32:33], s[8:9], v[36:37] op_sel:[0,0,1] op_sel_hi:[1,0,0] neg_lo:[0,0,1] neg_hi:[0,0,1]
	s_mov_b32 s0, 0x3dbcf732
	v_pk_mul_f32 v[36:37], v[48:49], s[20:21] op_sel_hi:[1,0]
	s_mov_b32 s50, 0xbf65296c
	v_pk_fma_f32 v[42:43], v[34:35], s[0:1], v[36:37] op_sel:[0,0,1] op_sel_hi:[1,0,0]
	v_pk_fma_f32 v[64:65], v[34:35], s[0:1], v[36:37] op_sel:[0,0,1] op_sel_hi:[1,0,0] neg_lo:[0,0,1] neg_hi:[0,0,1]
	s_mov_b32 s18, 0xbf4c4adb
	v_mov_b32_e32 v71, v41
	v_mov_b32_e32 v41, v63
	s_mov_b32 s10, 0x3ee437d1
	v_pk_mul_f32 v[36:37], v[44:45], s[50:51] op_sel_hi:[1,0]
	s_mov_b32 s16, 0xbf1a4643
	v_pk_mul_f32 v[38:39], v[48:49], s[18:19] op_sel_hi:[1,0]
	v_pk_add_f32 v[40:41], v[40:41], v[0:1]
	v_accvgpr_write_b32 a3, v43
	v_mov_b32_e32 v43, v65
	v_pk_add_f32 v[40:41], v[42:43], v[40:41]
	v_pk_fma_f32 v[42:43], v[34:35], s[16:17], v[38:39] op_sel:[0,0,1] op_sel_hi:[1,0,0]
	v_pk_fma_f32 v[80:81], v[34:35], s[16:17], v[38:39] op_sel:[0,0,1] op_sel_hi:[1,0,0] neg_lo:[0,0,1] neg_hi:[0,0,1]
	v_pk_fma_f32 v[38:39], v[32:33], s[10:11], v[36:37] op_sel:[0,0,1] op_sel_hi:[1,0,0]
	v_pk_fma_f32 v[82:83], v[32:33], s[10:11], v[36:37] op_sel:[0,0,1] op_sel_hi:[1,0,0] neg_lo:[0,0,1] neg_hi:[0,0,1]
	v_mov_b32_e32 v36, v38
	v_mov_b32_e32 v37, v83
	;; [unrolled: 1-line block ×3, first 2 shown]
	v_pk_add_f32 v[36:37], v[36:37], v[0:1]
	v_mov_b32_e32 v38, v42
	v_mov_b32_e32 v39, v81
	v_pk_add_f32 v[54:55], v[26:27], v[28:29] neg_lo:[0,1] neg_hi:[0,1]
	v_pk_add_f32 v[36:37], v[38:39], v[36:37]
	v_pk_add_f32 v[52:53], v[28:29], v[26:27]
	v_pk_mul_f32 v[38:39], v[54:55], s[18:19] op_sel_hi:[1,0]
	v_mov_b32_e32 v63, v43
	v_pk_fma_f32 v[42:43], v[52:53], s[16:17], v[38:39] op_sel:[0,0,1] op_sel_hi:[1,0,0]
	v_pk_fma_f32 v[88:89], v[52:53], s[16:17], v[38:39] op_sel:[0,0,1] op_sel_hi:[1,0,0] neg_lo:[0,0,1] neg_hi:[0,0,1]
	v_mov_b32_e32 v38, v42
	v_mov_b32_e32 v39, v89
	s_mov_b32 s24, 0x3e3c28d5
	v_pk_add_f32 v[38:39], v[38:39], v[40:41]
	s_mov_b32 s22, 0xbf7ba420
	v_pk_mul_f32 v[40:41], v[54:55], s[24:25] op_sel_hi:[1,0]
	v_accvgpr_write_b32 a5, v43
	v_pk_fma_f32 v[42:43], v[52:53], s[22:23], v[40:41] op_sel:[0,0,1] op_sel_hi:[1,0,0]
	v_pk_fma_f32 v[84:85], v[52:53], s[22:23], v[40:41] op_sel:[0,0,1] op_sel_hi:[1,0,0] neg_lo:[0,0,1] neg_hi:[0,0,1]
	v_mov_b32_e32 v40, v42
	v_mov_b32_e32 v41, v85
	s_mov_b32 s26, 0xbe3c28d5
	v_pk_add_f32 v[120:121], v[16:17], v[22:23] neg_lo:[0,1] neg_hi:[0,1]
	v_pk_add_f32 v[36:37], v[40:41], v[36:37]
	v_pk_add_f32 v[56:57], v[22:23], v[16:17]
	v_pk_mul_f32 v[40:41], v[120:121], s[26:27] op_sel:[1,0] op_sel_hi:[0,0]
	v_mov_b32_e32 v89, v43
	v_pk_fma_f32 v[42:43], v[56:57], s[22:23], v[40:41] op_sel_hi:[1,0,1]
	v_pk_fma_f32 v[100:101], v[56:57], s[22:23], v[40:41] op_sel_hi:[1,0,1] neg_lo:[0,0,1] neg_hi:[0,0,1]
	v_mov_b32_e32 v40, v42
	v_mov_b32_e32 v41, v101
	s_mov_b32 s54, 0x3f763a35
	v_pk_add_f32 v[38:39], v[40:41], v[38:39]
	s_mov_b32 s24, 0xbe8c1d8e
	v_pk_mul_f32 v[40:41], v[120:121], s[54:55] op_sel:[1,0] op_sel_hi:[0,0]
	v_accvgpr_write_b32 a9, v43
	v_pk_fma_f32 v[42:43], v[56:57], s[24:25], v[40:41] op_sel_hi:[1,0,1]
	v_pk_fma_f32 v[92:93], v[56:57], s[24:25], v[40:41] op_sel_hi:[1,0,1] neg_lo:[0,0,1] neg_hi:[0,0,1]
	v_mov_b32_e32 v40, v42
	v_mov_b32_e32 v41, v93
	s_mov_b32 s48, 0x3f06c442
	v_pk_add_f32 v[130:131], v[18:19], v[20:21] neg_lo:[0,1] neg_hi:[0,1]
	v_pk_add_f32 v[36:37], v[40:41], v[36:37]
	s_mov_b32 s28, 0xbf59a7d5
	v_pk_add_f32 v[58:59], v[20:21], v[18:19]
	v_pk_mul_f32 v[40:41], v[130:131], s[48:49] op_sel:[1,0] op_sel_hi:[0,0]
	v_accvgpr_write_b32 a7, v43
	v_pk_fma_f32 v[42:43], v[58:59], s[28:29], v[40:41] op_sel_hi:[1,0,1]
	v_pk_fma_f32 v[108:109], v[58:59], s[28:29], v[40:41] op_sel_hi:[1,0,1] neg_lo:[0,0,1] neg_hi:[0,0,1]
	v_mov_b32_e32 v40, v42
	v_mov_b32_e32 v41, v109
	s_mov_b32 s30, 0x3f2c7751
	v_pk_add_f32 v[38:39], v[40:41], v[38:39]
	v_pk_mul_f32 v[40:41], v[130:131], s[30:31] op_sel:[1,0] op_sel_hi:[0,0]
	v_mov_b32_e32 v93, v43
	v_pk_fma_f32 v[42:43], v[58:59], s[8:9], v[40:41] op_sel_hi:[1,0,1]
	v_pk_fma_f32 v[104:105], v[58:59], s[8:9], v[40:41] op_sel_hi:[1,0,1] neg_lo:[0,0,1] neg_hi:[0,0,1]
	v_mov_b32_e32 v40, v42
	v_mov_b32_e32 v41, v105
	v_pk_add_f32 v[152:153], v[8:9], v[14:15] neg_lo:[0,1] neg_hi:[0,1]
	v_pk_add_f32 v[36:37], v[40:41], v[36:37]
	v_pk_add_f32 v[60:61], v[14:15], v[8:9]
	v_pk_mul_f32 v[40:41], v[152:153], s[54:55] op_sel:[1,0] op_sel_hi:[0,0]
	v_pk_fma_f32 v[116:117], v[60:61], s[24:25], v[40:41] op_sel_hi:[1,0,1]
	v_pk_fma_f32 v[118:119], v[60:61], s[24:25], v[40:41] op_sel_hi:[1,0,1] neg_lo:[0,0,1] neg_hi:[0,0,1]
	v_mov_b32_e32 v40, v116
	v_mov_b32_e32 v41, v119
	s_mov_b32 s40, 0xbeb8f4ab
	v_pk_add_f32 v[38:39], v[40:41], v[38:39]
	s_mov_b32 s34, 0x3f6eb680
	v_pk_mul_f32 v[40:41], v[152:153], s[40:41] op_sel:[1,0] op_sel_hi:[0,0]
	v_pk_fma_f32 v[112:113], v[60:61], s[34:35], v[40:41] op_sel_hi:[1,0,1]
	v_pk_fma_f32 v[114:115], v[60:61], s[34:35], v[40:41] op_sel_hi:[1,0,1] neg_lo:[0,0,1] neg_hi:[0,0,1]
	v_mov_b32_e32 v40, v112
	v_mov_b32_e32 v41, v115
	s_mov_b32 s36, 0x3f65296c
	v_pk_add_f32 v[192:193], v[10:11], v[12:13] neg_lo:[0,1] neg_hi:[0,1]
	v_pk_add_f32 v[36:37], v[40:41], v[36:37]
	v_pk_add_f32 v[66:67], v[12:13], v[10:11]
	v_pk_mul_f32 v[40:41], v[192:193], s[36:37] op_sel:[1,0] op_sel_hi:[0,0]
	v_pk_fma_f32 v[126:127], v[66:67], s[10:11], v[40:41] op_sel_hi:[1,0,1]
	v_pk_fma_f32 v[128:129], v[66:67], s[10:11], v[40:41] op_sel_hi:[1,0,1] neg_lo:[0,0,1] neg_hi:[0,0,1]
	v_mov_b32_e32 v40, v126
	v_mov_b32_e32 v41, v129
	v_pk_add_f32 v[38:39], v[40:41], v[38:39]
	v_pk_mul_f32 v[40:41], v[192:193], s[20:21] op_sel:[1,0] op_sel_hi:[0,0]
	v_pk_fma_f32 v[122:123], v[66:67], s[0:1], v[40:41] op_sel_hi:[1,0,1]
	v_pk_fma_f32 v[124:125], v[66:67], s[0:1], v[40:41] op_sel_hi:[1,0,1] neg_lo:[0,0,1] neg_hi:[0,0,1]
	v_mov_b32_e32 v40, v122
	v_mov_b32_e32 v41, v125
	s_mov_b32 s42, 0x3eb8f4ab
	v_pk_add_f32 v[194:195], v[4:5], v[6:7] neg_lo:[0,1] neg_hi:[0,1]
	v_pk_add_f32 v[36:37], v[40:41], v[36:37]
	v_pk_add_f32 v[68:69], v[6:7], v[4:5]
	v_pk_mul_f32 v[40:41], v[194:195], s[42:43] op_sel:[1,0] op_sel_hi:[0,0]
	v_pk_fma_f32 v[146:147], v[68:69], s[34:35], v[40:41] op_sel_hi:[1,0,1]
	v_pk_fma_f32 v[148:149], v[68:69], s[34:35], v[40:41] op_sel_hi:[1,0,1] neg_lo:[0,0,1] neg_hi:[0,0,1]
	s_mov_b32 s38, 0xbf06c442
	v_mov_b32_e32 v40, v146
	v_mov_b32_e32 v41, v149
	v_pk_add_f32 v[38:39], v[40:41], v[38:39]
	v_pk_mul_f32 v[40:41], v[194:195], s[38:39] op_sel:[1,0] op_sel_hi:[0,0]
	v_pk_fma_f32 v[136:137], v[68:69], s[28:29], v[40:41] op_sel_hi:[1,0,1]
	v_pk_fma_f32 v[138:139], v[68:69], s[28:29], v[40:41] op_sel_hi:[1,0,1] neg_lo:[0,0,1] neg_hi:[0,0,1]
	v_mov_b32_e32 v40, v136
	v_mov_b32_e32 v41, v139
	v_pk_add_f32 v[36:37], v[40:41], v[36:37]
	v_pk_mul_f32 v[40:41], v[44:45], s[20:21] op_sel_hi:[1,0]
	v_accvgpr_write_b32 a11, v43
	v_pk_fma_f32 v[204:205], v[32:33], s[0:1], v[40:41] op_sel:[0,0,1] op_sel_hi:[1,0,0]
	v_pk_fma_f32 v[132:133], v[32:33], s[0:1], v[40:41] op_sel:[0,0,1] op_sel_hi:[1,0,0] neg_lo:[0,0,1] neg_hi:[0,0,1]
	v_pk_mul_f32 v[42:43], v[48:49], s[26:27] op_sel_hi:[1,0]
	v_mov_b32_e32 v40, v204
	v_mov_b32_e32 v41, v133
	v_pk_fma_f32 v[206:207], v[34:35], s[22:23], v[42:43] op_sel:[0,0,1] op_sel_hi:[1,0,0]
	v_pk_fma_f32 v[140:141], v[34:35], s[22:23], v[42:43] op_sel:[0,0,1] op_sel_hi:[1,0,0] neg_lo:[0,0,1] neg_hi:[0,0,1]
	v_mov_b32_e32 v42, v206
	v_mov_b32_e32 v43, v141
	v_pk_add_f32 v[40:41], v[40:41], v[0:1]
	s_mov_b32 s44, 0xbf763a35
	v_pk_add_f32 v[40:41], v[42:43], v[40:41]
	v_pk_mul_f32 v[42:43], v[54:55], s[54:55] op_sel_hi:[1,0]
	v_pk_mul_f32 v[46:47], v[48:49], s[48:49] op_sel_hi:[1,0]
	v_pk_fma_f32 v[208:209], v[52:53], s[24:25], v[42:43] op_sel:[0,0,1] op_sel_hi:[1,0,0]
	v_pk_fma_f32 v[72:73], v[52:53], s[24:25], v[42:43] op_sel:[0,0,1] op_sel_hi:[1,0,0] neg_lo:[0,0,1] neg_hi:[0,0,1]
	v_mov_b32_e32 v42, v208
	v_mov_b32_e32 v43, v73
	v_pk_add_f32 v[40:41], v[42:43], v[40:41]
	v_pk_mul_f32 v[42:43], v[44:45], s[44:45] op_sel_hi:[1,0]
	v_pk_fma_f32 v[226:227], v[34:35], s[28:29], v[46:47] op_sel:[0,0,1] op_sel_hi:[1,0,0]
	v_pk_fma_f32 v[218:219], v[32:33], s[24:25], v[42:43] op_sel:[0,0,1] op_sel_hi:[1,0,0]
	v_pk_fma_f32 v[134:135], v[32:33], s[24:25], v[42:43] op_sel:[0,0,1] op_sel_hi:[1,0,0] neg_lo:[0,0,1] neg_hi:[0,0,1]
	v_mov_b32_e32 v42, v218
	v_mov_b32_e32 v43, v135
	v_pk_fma_f32 v[142:143], v[34:35], s[28:29], v[46:47] op_sel:[0,0,1] op_sel_hi:[1,0,0] neg_lo:[0,0,1] neg_hi:[0,0,1]
	v_mov_b32_e32 v46, v226
	v_mov_b32_e32 v47, v143
	v_pk_add_f32 v[42:43], v[42:43], v[0:1]
	s_mov_b32 s48, 0x3f7ee86f
	v_pk_add_f32 v[42:43], v[46:47], v[42:43]
	v_pk_mul_f32 v[46:47], v[54:55], s[30:31] op_sel_hi:[1,0]
	s_mov_b32 s52, 0x3f4c4adb
	v_pk_fma_f32 v[236:237], v[52:53], s[8:9], v[46:47] op_sel:[0,0,1] op_sel_hi:[1,0,0]
	v_pk_fma_f32 v[144:145], v[52:53], s[8:9], v[46:47] op_sel:[0,0,1] op_sel_hi:[1,0,0] neg_lo:[0,0,1] neg_hi:[0,0,1]
	v_mov_b32_e32 v46, v236
	v_mov_b32_e32 v47, v145
	v_pk_add_f32 v[42:43], v[46:47], v[42:43]
	v_pk_mul_f32 v[46:47], v[120:121], s[42:43] op_sel:[1,0] op_sel_hi:[0,0]
	v_pk_fma_f32 v[224:225], v[56:57], s[34:35], v[46:47] op_sel_hi:[1,0,1]
	v_pk_fma_f32 v[156:157], v[56:57], s[34:35], v[46:47] op_sel_hi:[1,0,1] neg_lo:[0,0,1] neg_hi:[0,0,1]
	v_mov_b32_e32 v46, v224
	v_mov_b32_e32 v47, v157
	v_pk_add_f32 v[40:41], v[46:47], v[40:41]
	v_pk_mul_f32 v[46:47], v[120:121], s[50:51] op_sel:[1,0] op_sel_hi:[0,0]
	v_pk_fma_f32 v[242:243], v[56:57], s[10:11], v[46:47] op_sel_hi:[1,0,1]
	v_pk_fma_f32 v[150:151], v[56:57], s[10:11], v[46:47] op_sel_hi:[1,0,1] neg_lo:[0,0,1] neg_hi:[0,0,1]
	;; [unrolled: 6-line block ×10, first 2 shown]
	v_mov_b32_e32 v40, v174
	v_mov_b32_e32 v41, v177
	v_pk_add_f32 v[40:41], v[40:41], v[46:47]
	v_pk_mul_f32 v[46:47], v[44:45], s[40:41] op_sel_hi:[1,0]
	v_pk_mul_f32 v[74:75], v[48:49], s[46:47] op_sel_hi:[1,0]
	v_pk_fma_f32 v[102:103], v[32:33], s[34:35], v[46:47] op_sel:[0,0,1] op_sel_hi:[1,0,0]
	v_pk_fma_f32 v[246:247], v[32:33], s[34:35], v[46:47] op_sel:[0,0,1] op_sel_hi:[1,0,0] neg_lo:[0,0,1] neg_hi:[0,0,1]
	v_mov_b32_e32 v46, v102
	v_mov_b32_e32 v47, v247
	v_pk_fma_f32 v[248:249], v[34:35], s[8:9], v[74:75] op_sel:[0,0,1] op_sel_hi:[1,0,0]
	v_pk_fma_f32 v[250:251], v[34:35], s[8:9], v[74:75] op_sel:[0,0,1] op_sel_hi:[1,0,0] neg_lo:[0,0,1] neg_hi:[0,0,1]
	v_pk_add_f32 v[46:47], v[46:47], v[0:1]
	v_mov_b32_e32 v74, v248
	v_mov_b32_e32 v75, v251
	v_pk_add_f32 v[46:47], v[74:75], v[46:47]
	v_pk_mul_f32 v[74:75], v[54:55], s[50:51] op_sel_hi:[1,0]
	v_mul_lo_u16_e32 v174, 17, v185
	v_pk_fma_f32 v[252:253], v[52:53], s[10:11], v[74:75] op_sel:[0,0,1] op_sel_hi:[1,0,0]
	v_pk_fma_f32 v[254:255], v[52:53], s[10:11], v[74:75] op_sel:[0,0,1] op_sel_hi:[1,0,0] neg_lo:[0,0,1] neg_hi:[0,0,1]
	v_mov_b32_e32 v74, v252
	v_mov_b32_e32 v75, v255
	v_pk_add_f32 v[46:47], v[74:75], v[46:47]
	v_pk_mul_f32 v[74:75], v[120:121], s[20:21] op_sel:[1,0] op_sel_hi:[0,0]
	v_pk_fma_f32 v[76:77], v[56:57], s[0:1], v[74:75] op_sel_hi:[1,0,1]
	v_pk_fma_f32 v[74:75], v[56:57], s[0:1], v[74:75] op_sel_hi:[1,0,1] neg_lo:[0,0,1] neg_hi:[0,0,1]
	v_mov_b32_e32 v78, v76
	v_mov_b32_e32 v79, v75
	v_pk_add_f32 v[46:47], v[78:79], v[46:47]
	v_pk_mul_f32 v[78:79], v[130:131], s[44:45] op_sel:[1,0] op_sel_hi:[0,0]
	v_pk_fma_f32 v[86:87], v[58:59], s[24:25], v[78:79] op_sel_hi:[1,0,1]
	v_pk_fma_f32 v[78:79], v[58:59], s[24:25], v[78:79] op_sel_hi:[1,0,1] neg_lo:[0,0,1] neg_hi:[0,0,1]
	;; [unrolled: 6-line block ×5, first 2 shown]
	v_mov_b32_e32 v182, v110
	v_mov_b32_e32 v183, v107
	v_pk_add_f32 v[46:47], v[182:183], v[46:47]
	v_pk_mul_f32 v[182:183], v[48:49], s[54:55] op_sel_hi:[1,0]
	v_accvgpr_write_b32 a0, v46
	v_accvgpr_write_b32 a1, v47
	v_pk_mul_f32 v[46:47], v[44:45], s[18:19] op_sel_hi:[1,0]
	v_pk_fma_f32 v[200:201], v[34:35], s[24:25], v[182:183] op_sel:[0,0,1] op_sel_hi:[1,0,0]
	v_pk_fma_f32 v[196:197], v[32:33], s[16:17], v[46:47] op_sel:[0,0,1] op_sel_hi:[1,0,0]
	v_pk_fma_f32 v[198:199], v[32:33], s[16:17], v[46:47] op_sel:[0,0,1] op_sel_hi:[1,0,0] neg_lo:[0,0,1] neg_hi:[0,0,1]
	v_mov_b32_e32 v46, v196
	v_mov_b32_e32 v47, v199
	v_pk_fma_f32 v[202:203], v[34:35], s[24:25], v[182:183] op_sel:[0,0,1] op_sel_hi:[1,0,0] neg_lo:[0,0,1] neg_hi:[0,0,1]
	v_mov_b32_e32 v182, v200
	v_mov_b32_e32 v183, v203
	v_pk_add_f32 v[46:47], v[46:47], v[0:1]
	s_nop 0
	v_pk_add_f32 v[46:47], v[182:183], v[46:47]
	v_pk_mul_f32 v[182:183], v[54:55], s[40:41] op_sel_hi:[1,0]
	s_barrier
	v_pk_fma_f32 v[210:211], v[52:53], s[34:35], v[182:183] op_sel:[0,0,1] op_sel_hi:[1,0,0]
	v_pk_fma_f32 v[212:213], v[52:53], s[34:35], v[182:183] op_sel:[0,0,1] op_sel_hi:[1,0,0] neg_lo:[0,0,1] neg_hi:[0,0,1]
	v_mov_b32_e32 v182, v210
	v_mov_b32_e32 v183, v213
	v_pk_add_f32 v[46:47], v[182:183], v[46:47]
	v_pk_mul_f32 v[182:183], v[120:121], s[38:39] op_sel:[1,0] op_sel_hi:[0,0]
	v_pk_fma_f32 v[214:215], v[56:57], s[28:29], v[182:183] op_sel_hi:[1,0,1]
	v_pk_fma_f32 v[216:217], v[56:57], s[28:29], v[182:183] op_sel_hi:[1,0,1] neg_lo:[0,0,1] neg_hi:[0,0,1]
	v_mov_b32_e32 v182, v214
	v_mov_b32_e32 v183, v217
	v_pk_add_f32 v[46:47], v[182:183], v[46:47]
	v_pk_mul_f32 v[182:183], v[130:131], s[48:49] op_sel:[1,0] op_sel_hi:[0,0]
	v_pk_fma_f32 v[220:221], v[58:59], s[0:1], v[182:183] op_sel_hi:[1,0,1]
	v_pk_fma_f32 v[222:223], v[58:59], s[0:1], v[182:183] op_sel_hi:[1,0,1] neg_lo:[0,0,1] neg_hi:[0,0,1]
	v_mov_b32_e32 v182, v220
	v_mov_b32_e32 v183, v223
	v_pk_add_f32 v[46:47], v[182:183], v[46:47]
	v_pk_mul_f32 v[182:183], v[152:153], s[46:47] op_sel:[1,0] op_sel_hi:[0,0]
	v_pk_fma_f32 v[228:229], v[60:61], s[8:9], v[182:183] op_sel_hi:[1,0,1]
	v_pk_fma_f32 v[230:231], v[60:61], s[8:9], v[182:183] op_sel_hi:[1,0,1] neg_lo:[0,0,1] neg_hi:[0,0,1]
	v_mov_b32_e32 v182, v228
	v_mov_b32_e32 v183, v231
	v_pk_add_f32 v[46:47], v[182:183], v[46:47]
	v_pk_mul_f32 v[182:183], v[192:193], s[26:27] op_sel:[1,0] op_sel_hi:[0,0]
	v_pk_fma_f32 v[232:233], v[66:67], s[22:23], v[182:183] op_sel_hi:[1,0,1]
	v_pk_fma_f32 v[234:235], v[66:67], s[22:23], v[182:183] op_sel_hi:[1,0,1] neg_lo:[0,0,1] neg_hi:[0,0,1]
	v_mov_b32_e32 v182, v232
	v_mov_b32_e32 v183, v235
	v_pk_add_f32 v[46:47], v[182:183], v[46:47]
	v_pk_mul_f32 v[182:183], v[194:195], s[36:37] op_sel:[1,0] op_sel_hi:[0,0]
	v_pk_fma_f32 v[238:239], v[68:69], s[10:11], v[182:183] op_sel_hi:[1,0,1]
	v_pk_fma_f32 v[240:241], v[68:69], s[10:11], v[182:183] op_sel_hi:[1,0,1] neg_lo:[0,0,1] neg_hi:[0,0,1]
	v_mov_b32_e32 v182, v238
	v_mov_b32_e32 v183, v241
	v_pk_add_f32 v[46:47], v[182:183], v[46:47]
	s_and_saveexec_b64 s[46:47], s[4:5]
	s_cbranch_execz .LBB0_7
; %bb.6:
	v_pk_add_f32 v[2:3], v[2:3], v[0:1]
	v_mov_b32_e32 v247, v103
	v_pk_add_f32 v[2:3], v[24:25], v[2:3]
	v_mov_b32_e32 v251, v249
	;; [unrolled: 2-line block ×7, first 2 shown]
	v_pk_add_f32 v[2:3], v[4:5], v[2:3]
	v_pk_add_f32 v[4:5], v[246:247], v[0:1]
	;; [unrolled: 1-line block ×13, first 2 shown]
	v_mov_b32_e32 v98, v191
	v_pk_add_f32 v[2:3], v[30:31], v[2:3]
	v_pk_add_f32 v[4:5], v[96:97], v[4:5]
	v_mov_b32_e32 v107, v111
	v_mov_b32_e32 v83, v65
	;; [unrolled: 1-line block ×4, first 2 shown]
	v_add_lshl_u32 v71, v98, v174, 3
	v_pk_add_f32 v[2:3], v[50:51], v[2:3]
	v_pk_add_f32 v[4:5], v[106:107], v[4:5]
	v_accvgpr_read_b32 v65, a3
	ds_write2_b64 v71, v[2:3], v[4:5] offset1:1
	v_pk_add_f32 v[2:3], v[62:63], v[0:1]
	v_pk_add_f32 v[4:5], v[82:83], v[0:1]
	v_mov_b32_e32 v85, v89
	v_pk_add_f32 v[2:3], v[64:65], v[2:3]
	v_accvgpr_read_b32 v89, a5
	v_pk_add_f32 v[4:5], v[80:81], v[4:5]
	v_pk_add_f32 v[2:3], v[88:89], v[2:3]
	v_accvgpr_read_b32 v101, a9
	v_mov_b32_e32 v109, v93
	v_pk_add_f32 v[4:5], v[84:85], v[4:5]
	v_accvgpr_read_b32 v93, a7
	v_pk_add_f32 v[2:3], v[100:101], v[2:3]
	v_pk_add_f32 v[4:5], v[92:93], v[4:5]
	v_accvgpr_read_b32 v105, a11
	v_pk_add_f32 v[2:3], v[108:109], v[2:3]
	v_mov_b32_e32 v119, v117
	v_pk_add_f32 v[4:5], v[104:105], v[4:5]
	v_mov_b32_e32 v115, v113
	;; [unrolled: 2-line block ×6, first 2 shown]
	v_mov_b32_e32 v135, v219
	v_mov_b32_e32 v133, v205
	v_pk_add_f32 v[2:3], v[148:149], v[2:3]
	v_pk_add_f32 v[4:5], v[138:139], v[4:5]
	v_mov_b32_e32 v143, v227
	v_mov_b32_e32 v141, v207
	ds_write2_b64 v71, v[2:3], v[4:5] offset0:2 offset1:3
	v_pk_add_f32 v[2:3], v[132:133], v[0:1]
	v_pk_add_f32 v[4:5], v[134:135], v[0:1]
	v_mov_b32_e32 v145, v237
	v_mov_b32_e32 v73, v209
	v_pk_add_f32 v[2:3], v[140:141], v[2:3]
	v_pk_add_f32 v[4:5], v[142:143], v[4:5]
	v_mov_b32_e32 v151, v243
	v_mov_b32_e32 v157, v225
	v_pk_add_f32 v[2:3], v[72:73], v[2:3]
	v_pk_add_f32 v[4:5], v[144:145], v[4:5]
	v_mov_b32_e32 v155, v245
	v_pk_add_f32 v[2:3], v[156:157], v[2:3]
	v_mov_b32_e32 v165, v159
	v_pk_add_f32 v[4:5], v[150:151], v[4:5]
	v_pk_add_f32 v[2:3], v[164:165], v[2:3]
	v_mov_b32_e32 v169, v167
	v_pk_add_f32 v[4:5], v[154:155], v[4:5]
	v_mov_b32_e32 v163, v161
	;; [unrolled: 2-line block ×6, first 2 shown]
	v_pk_add_f32 v[2:3], v[188:189], v[2:3]
	v_pk_add_f32 v[4:5], v[176:177], v[4:5]
	ds_write2_b64 v71, v[2:3], v[4:5] offset0:4 offset1:5
	v_pk_mul_f32 v[4:5], v[44:45], s[38:39] op_sel_hi:[1,0]
	v_pk_mul_f32 v[10:11], v[48:49], s[36:37] op_sel_hi:[1,0]
	v_pk_fma_f32 v[6:7], v[32:33], s[28:29], v[4:5] op_sel:[0,0,1] op_sel_hi:[1,0,0] neg_lo:[0,0,1] neg_hi:[0,0,1]
	v_pk_fma_f32 v[4:5], v[32:33], s[28:29], v[4:5] op_sel:[0,0,1] op_sel_hi:[1,0,0]
	v_mov_b32_e32 v8, v6
	v_mov_b32_e32 v9, v5
	v_pk_fma_f32 v[12:13], v[34:35], s[10:11], v[10:11] op_sel:[0,0,1] op_sel_hi:[1,0,0] neg_lo:[0,0,1] neg_hi:[0,0,1]
	v_pk_fma_f32 v[10:11], v[34:35], s[10:11], v[10:11] op_sel:[0,0,1] op_sel_hi:[1,0,0]
	v_pk_add_f32 v[8:9], v[8:9], v[0:1]
	v_mov_b32_e32 v14, v12
	v_mov_b32_e32 v15, v11
	v_pk_add_f32 v[8:9], v[14:15], v[8:9]
	v_pk_mul_f32 v[14:15], v[54:55], s[20:21] op_sel_hi:[1,0]
	v_mov_b32_e32 v94, v190
	v_pk_fma_f32 v[16:17], v[52:53], s[0:1], v[14:15] op_sel:[0,0,1] op_sel_hi:[1,0,0] neg_lo:[0,0,1] neg_hi:[0,0,1]
	v_pk_fma_f32 v[14:15], v[52:53], s[0:1], v[14:15] op_sel:[0,0,1] op_sel_hi:[1,0,0]
	v_mov_b32_e32 v190, v121
	v_mov_b32_e32 v191, v120
	;; [unrolled: 1-line block ×4, first 2 shown]
	v_pk_add_f32 v[8:9], v[18:19], v[8:9]
	v_pk_mul_f32 v[18:19], v[190:191], s[52:53] op_sel_hi:[1,0]
	v_mov_b32_e32 v76, v184
	v_pk_fma_f32 v[20:21], v[56:57], s[16:17], v[18:19] op_sel_hi:[1,0,1] neg_lo:[0,0,1] neg_hi:[0,0,1]
	v_pk_fma_f32 v[18:19], v[56:57], s[16:17], v[18:19] op_sel_hi:[1,0,1]
	v_mov_b32_e32 v184, v131
	v_mov_b32_e32 v86, v185
	;; [unrolled: 1-line block ×5, first 2 shown]
	v_pk_add_f32 v[8:9], v[22:23], v[8:9]
	v_pk_mul_f32 v[22:23], v[184:185], s[40:41] op_sel_hi:[1,0]
	v_mov_b32_e32 v182, v153
	v_pk_fma_f32 v[24:25], v[58:59], s[34:35], v[22:23] op_sel_hi:[1,0,1] neg_lo:[0,0,1] neg_hi:[0,0,1]
	v_pk_fma_f32 v[22:23], v[58:59], s[34:35], v[22:23] op_sel_hi:[1,0,1]
	v_mov_b32_e32 v183, v152
	v_mov_b32_e32 v26, v24
	;; [unrolled: 1-line block ×3, first 2 shown]
	v_pk_add_f32 v[8:9], v[26:27], v[8:9]
	v_pk_mul_f32 v[26:27], v[182:183], s[26:27] op_sel_hi:[1,0]
	v_mov_b32_e32 v199, v197
	v_pk_fma_f32 v[28:29], v[60:61], s[22:23], v[26:27] op_sel_hi:[1,0,1] neg_lo:[0,0,1] neg_hi:[0,0,1]
	v_pk_fma_f32 v[26:27], v[60:61], s[22:23], v[26:27] op_sel_hi:[1,0,1]
	v_mov_b32_e32 v130, v193
	v_mov_b32_e32 v131, v192
	v_pk_add_f32 v[2:3], v[198:199], v[0:1]
	v_mov_b32_e32 v203, v201
	v_mov_b32_e32 v30, v28
	;; [unrolled: 1-line block ×3, first 2 shown]
	v_pk_add_f32 v[2:3], v[202:203], v[2:3]
	v_mov_b32_e32 v213, v211
	v_pk_add_f32 v[8:9], v[30:31], v[8:9]
	v_pk_mul_f32 v[30:31], v[130:131], s[30:31] op_sel_hi:[1,0]
	v_pk_add_f32 v[2:3], v[212:213], v[2:3]
	v_mov_b32_e32 v217, v215
	v_pk_fma_f32 v[50:51], v[66:67], s[8:9], v[30:31] op_sel_hi:[1,0,1] neg_lo:[0,0,1] neg_hi:[0,0,1]
	v_pk_fma_f32 v[30:31], v[66:67], s[8:9], v[30:31] op_sel_hi:[1,0,1]
	v_mov_b32_e32 v120, v195
	v_mov_b32_e32 v121, v194
	v_pk_add_f32 v[2:3], v[216:217], v[2:3]
	v_mov_b32_e32 v223, v221
	v_mov_b32_e32 v62, v50
	;; [unrolled: 1-line block ×3, first 2 shown]
	v_pk_add_f32 v[2:3], v[222:223], v[2:3]
	v_mov_b32_e32 v231, v229
	v_pk_add_f32 v[8:9], v[62:63], v[8:9]
	v_pk_mul_f32 v[62:63], v[120:121], s[44:45] op_sel_hi:[1,0]
	v_pk_add_f32 v[2:3], v[230:231], v[2:3]
	v_mov_b32_e32 v235, v233
	v_pk_fma_f32 v[64:65], v[68:69], s[24:25], v[62:63] op_sel_hi:[1,0,1] neg_lo:[0,0,1] neg_hi:[0,0,1]
	v_pk_fma_f32 v[62:63], v[68:69], s[24:25], v[62:63] op_sel_hi:[1,0,1]
	v_pk_add_f32 v[2:3], v[234:235], v[2:3]
	v_mov_b32_e32 v241, v239
	v_mov_b32_e32 v72, v64
	;; [unrolled: 1-line block ×3, first 2 shown]
	v_pk_add_f32 v[2:3], v[240:241], v[2:3]
	v_pk_add_f32 v[8:9], v[72:73], v[8:9]
	ds_write2_b64 v71, v[2:3], v[8:9] offset0:6 offset1:7
	v_pk_mul_f32 v[2:3], v[44:45], s[26:27] op_sel_hi:[1,0]
	v_pk_mul_f32 v[44:45], v[48:49], s[42:43] op_sel_hi:[1,0]
	v_pk_fma_f32 v[8:9], v[32:33], s[22:23], v[2:3] op_sel:[0,0,1] op_sel_hi:[1,0,0] neg_lo:[0,0,1] neg_hi:[0,0,1]
	v_pk_fma_f32 v[2:3], v[32:33], s[22:23], v[2:3] op_sel:[0,0,1] op_sel_hi:[1,0,0]
	v_mov_b32_e32 v32, v8
	v_mov_b32_e32 v33, v3
	v_pk_fma_f32 v[48:49], v[34:35], s[34:35], v[44:45] op_sel:[0,0,1] op_sel_hi:[1,0,0] neg_lo:[0,0,1] neg_hi:[0,0,1]
	v_pk_fma_f32 v[34:35], v[34:35], s[34:35], v[44:45] op_sel:[0,0,1] op_sel_hi:[1,0,0]
	v_pk_add_f32 v[32:33], v[32:33], v[0:1]
	v_mov_b32_e32 v44, v48
	v_mov_b32_e32 v45, v35
	v_pk_add_f32 v[32:33], v[44:45], v[32:33]
	v_pk_mul_f32 v[44:45], v[54:55], s[38:39] op_sel_hi:[1,0]
	v_mov_b32_e32 v3, v9
	v_pk_fma_f32 v[54:55], v[52:53], s[28:29], v[44:45] op_sel:[0,0,1] op_sel_hi:[1,0,0] neg_lo:[0,0,1] neg_hi:[0,0,1]
	v_pk_fma_f32 v[44:45], v[52:53], s[28:29], v[44:45] op_sel:[0,0,1] op_sel_hi:[1,0,0]
	v_mov_b32_e32 v52, v54
	v_mov_b32_e32 v53, v45
	v_pk_add_f32 v[32:33], v[52:53], v[32:33]
	v_pk_mul_f32 v[52:53], v[190:191], s[30:31] op_sel_hi:[1,0]
	v_mov_b32_e32 v5, v7
	v_pk_fma_f32 v[72:73], v[56:57], s[8:9], v[52:53] op_sel_hi:[1,0,1] neg_lo:[0,0,1] neg_hi:[0,0,1]
	v_pk_fma_f32 v[52:53], v[56:57], s[8:9], v[52:53] op_sel_hi:[1,0,1]
	v_mov_b32_e32 v56, v72
	v_mov_b32_e32 v57, v53
	v_pk_add_f32 v[32:33], v[56:57], v[32:33]
	v_pk_mul_f32 v[56:57], v[184:185], s[18:19] op_sel_hi:[1,0]
	v_mov_b32_e32 v184, v76
	v_pk_fma_f32 v[74:75], v[58:59], s[16:17], v[56:57] op_sel_hi:[1,0,1] neg_lo:[0,0,1] neg_hi:[0,0,1]
	v_pk_fma_f32 v[56:57], v[58:59], s[16:17], v[56:57] op_sel_hi:[1,0,1]
	v_mov_b32_e32 v58, v74
	v_mov_b32_e32 v59, v57
	v_pk_add_f32 v[32:33], v[58:59], v[32:33]
	v_pk_mul_f32 v[58:59], v[182:183], s[36:37] op_sel_hi:[1,0]
	v_pk_add_f32 v[2:3], v[2:3], v[0:1]
	v_pk_fma_f32 v[76:77], v[60:61], s[10:11], v[58:59] op_sel_hi:[1,0,1] neg_lo:[0,0,1] neg_hi:[0,0,1]
	v_pk_fma_f32 v[58:59], v[60:61], s[10:11], v[58:59] op_sel_hi:[1,0,1]
	v_mov_b32_e32 v60, v76
	v_mov_b32_e32 v61, v59
	;; [unrolled: 1-line block ×3, first 2 shown]
	v_pk_add_f32 v[0:1], v[4:5], v[0:1]
	v_mov_b32_e32 v11, v13
	v_pk_add_f32 v[32:33], v[60:61], v[32:33]
	v_pk_mul_f32 v[60:61], v[130:131], s[44:45] op_sel_hi:[1,0]
	v_pk_add_f32 v[2:3], v[34:35], v[2:3]
	v_mov_b32_e32 v45, v55
	v_pk_add_f32 v[0:1], v[10:11], v[0:1]
	v_mov_b32_e32 v15, v17
	v_pk_fma_f32 v[78:79], v[66:67], s[24:25], v[60:61] op_sel_hi:[1,0,1] neg_lo:[0,0,1] neg_hi:[0,0,1]
	v_pk_fma_f32 v[60:61], v[66:67], s[24:25], v[60:61] op_sel_hi:[1,0,1]
	v_pk_add_f32 v[2:3], v[44:45], v[2:3]
	v_mov_b32_e32 v53, v73
	v_pk_add_f32 v[0:1], v[14:15], v[0:1]
	v_mov_b32_e32 v19, v21
	v_mov_b32_e32 v66, v78
	;; [unrolled: 1-line block ×3, first 2 shown]
	v_pk_add_f32 v[2:3], v[52:53], v[2:3]
	v_mov_b32_e32 v57, v75
	v_pk_add_f32 v[0:1], v[18:19], v[0:1]
	v_mov_b32_e32 v23, v25
	v_pk_add_f32 v[32:33], v[66:67], v[32:33]
	v_pk_mul_f32 v[66:67], v[120:121], s[48:49] op_sel_hi:[1,0]
	v_pk_add_f32 v[2:3], v[56:57], v[2:3]
	v_mov_b32_e32 v59, v77
	v_pk_add_f32 v[0:1], v[22:23], v[0:1]
	v_mov_b32_e32 v27, v29
	v_pk_fma_f32 v[80:81], v[68:69], s[0:1], v[66:67] op_sel_hi:[1,0,1] neg_lo:[0,0,1] neg_hi:[0,0,1]
	v_pk_fma_f32 v[66:67], v[68:69], s[0:1], v[66:67] op_sel_hi:[1,0,1]
	v_pk_add_f32 v[2:3], v[58:59], v[2:3]
	v_mov_b32_e32 v61, v79
	v_pk_add_f32 v[0:1], v[26:27], v[0:1]
	v_mov_b32_e32 v31, v51
	v_mov_b32_e32 v68, v80
	v_mov_b32_e32 v69, v67
	v_pk_add_f32 v[2:3], v[60:61], v[2:3]
	v_mov_b32_e32 v67, v81
	v_pk_add_f32 v[0:1], v[30:31], v[0:1]
	v_mov_b32_e32 v63, v65
	v_mov_b32_e32 v191, v98
	;; [unrolled: 1-line block ×4, first 2 shown]
	v_pk_add_f32 v[32:33], v[68:69], v[32:33]
	v_pk_add_f32 v[2:3], v[66:67], v[2:3]
	;; [unrolled: 1-line block ×3, first 2 shown]
	ds_write2_b64 v71, v[32:33], v[2:3] offset0:8 offset1:9
	ds_write2_b64 v71, v[0:1], v[46:47] offset0:10 offset1:11
	;; [unrolled: 1-line block ×4, first 2 shown]
	ds_write_b64 v71, a[0:1] offset:128
.LBB0_7:
	s_or_b64 exec, exec, s[46:47]
	s_movk_i32 s0, 0xf1
	v_mul_lo_u16_sdwa v0, v185, s0 dst_sel:DWORD dst_unused:UNUSED_PAD src0_sel:BYTE_0 src1_sel:DWORD
	v_lshrrev_b16_e32 v71, 12, v0
	v_mul_lo_u16_e32 v0, 17, v71
	v_sub_u16_e32 v136, v185, v0
	v_mov_b32_e32 v0, 10
	v_mul_u32_u24_sdwa v0, v136, v0 dst_sel:DWORD dst_unused:UNUSED_PAD src0_sel:BYTE_0 src1_sel:DWORD
	v_lshlrev_b32_e32 v16, 3, v0
	s_load_dwordx4 s[8:11], s[2:3], 0x0
	s_waitcnt lgkmcnt(0)
	s_barrier
	global_load_dwordx4 v[20:23], v16, s[6:7]
	global_load_dwordx4 v[12:15], v16, s[6:7] offset:16
	global_load_dwordx4 v[8:11], v16, s[6:7] offset:32
	;; [unrolled: 1-line block ×4, first 2 shown]
	v_add_lshl_u32 v150, v191, v185, 3
	ds_read2_b64 v[16:19], v150 offset1:102
	v_add_u32_e32 v26, 0x400, v150
	v_add_u32_e32 v27, 0x800, v150
	;; [unrolled: 1-line block ×4, first 2 shown]
	ds_read_b64 v[24:25], v150 offset:8160
	ds_read2_b64 v[48:51], v26 offset0:76 offset1:178
	ds_read2_b64 v[52:55], v27 offset0:152 offset1:254
	;; [unrolled: 1-line block ×4, first 2 shown]
	s_mov_b32 s0, 0x3ed4b147
	s_mov_b32 s18, 0xbf68dda4
	;; [unrolled: 1-line block ×16, first 2 shown]
	s_waitcnt lgkmcnt(0)
	s_barrier
	s_waitcnt vmcnt(4)
	v_pk_mul_f32 v[28:29], v[18:19], v[20:21] op_sel:[0,1]
	s_waitcnt vmcnt(3)
	v_pk_mul_f32 v[32:33], v[50:51], v[12:13] op_sel:[0,1]
	v_mov_b32_e32 v30, v23
	s_waitcnt vmcnt(1)
	v_pk_mul_f32 v[66:67], v[58:59], v[4:5] op_sel:[0,1]
	s_waitcnt vmcnt(0)
	v_mov_b32_e32 v74, v3
	v_mov_b32_e32 v34, v15
	v_pk_fma_f32 v[26:27], v[18:19], v[20:21], v[28:29] op_sel:[0,0,1] op_sel_hi:[1,1,0] neg_lo:[0,0,1] neg_hi:[0,0,1]
	v_pk_fma_f32 v[18:19], v[18:19], v[20:21], v[28:29] op_sel:[0,0,1] op_sel_hi:[1,0,0]
	v_pk_fma_f32 v[28:29], v[50:51], v[12:13], v[32:33] op_sel:[0,0,1] op_sel_hi:[1,1,0] neg_lo:[0,0,1] neg_hi:[0,0,1]
	v_pk_fma_f32 v[50:51], v[50:51], v[12:13], v[32:33] op_sel:[0,0,1] op_sel_hi:[1,0,0]
	v_pk_fma_f32 v[32:33], v[58:59], v[4:5], v[66:67] op_sel:[0,0,1] op_sel_hi:[1,1,0] neg_lo:[0,0,1] neg_hi:[0,0,1]
	v_pk_fma_f32 v[58:59], v[58:59], v[4:5], v[66:67] op_sel:[0,0,1] op_sel_hi:[1,0,0]
	v_pk_mul_f32 v[66:67], v[24:25], v[74:75] op_sel_hi:[1,0]
	v_pk_mul_f32 v[44:45], v[54:55], v[8:9] op_sel:[0,1]
	v_mov_b32_e32 v64, v11
	v_mov_b32_e32 v68, v7
	v_pk_mul_f32 v[76:77], v[48:49], v[30:31] op_sel_hi:[1,0]
	v_pk_mul_f32 v[78:79], v[52:53], v[34:35] op_sel_hi:[1,0]
	v_mov_b32_e32 v33, v59
	v_pk_fma_f32 v[58:59], v[24:25], v[2:3], v[66:67] op_sel:[0,0,1] op_sel_hi:[1,1,0] neg_lo:[0,0,1] neg_hi:[0,0,1]
	v_pk_fma_f32 v[24:25], v[24:25], v[2:3], v[66:67] op_sel:[0,0,1] op_sel_hi:[1,0,0]
	v_pk_mul_f32 v[72:73], v[62:63], v[0:1] op_sel:[0,1]
	v_pk_fma_f32 v[30:31], v[54:55], v[8:9], v[44:45] op_sel:[0,0,1] op_sel_hi:[1,1,0] neg_lo:[0,0,1] neg_hi:[0,0,1]
	v_pk_fma_f32 v[44:45], v[54:55], v[8:9], v[44:45] op_sel:[0,0,1] op_sel_hi:[1,0,0]
	v_pk_mul_f32 v[54:55], v[56:57], v[64:65] op_sel_hi:[1,0]
	v_pk_mul_f32 v[64:65], v[60:61], v[68:69] op_sel_hi:[1,0]
	v_mov_b32_e32 v27, v19
	v_pk_fma_f32 v[68:69], v[48:49], v[22:23], v[76:77] op_sel:[0,0,1] op_sel_hi:[1,1,0] neg_lo:[0,0,1] neg_hi:[0,0,1]
	v_pk_fma_f32 v[18:19], v[48:49], v[22:23], v[76:77] op_sel:[0,0,1] op_sel_hi:[1,0,0]
	v_mov_b32_e32 v29, v51
	v_pk_fma_f32 v[48:49], v[52:53], v[14:15], v[78:79] op_sel:[0,0,1] op_sel_hi:[1,1,0] neg_lo:[0,0,1] neg_hi:[0,0,1]
	v_pk_fma_f32 v[50:51], v[52:53], v[14:15], v[78:79] op_sel:[0,0,1] op_sel_hi:[1,0,0]
	;; [unrolled: 3-line block ×4, first 2 shown]
	v_pk_fma_f32 v[56:57], v[60:61], v[6:7], v[64:65] op_sel:[0,0,1] op_sel_hi:[1,1,0] neg_lo:[0,0,1] neg_hi:[0,0,1]
	v_pk_fma_f32 v[52:53], v[60:61], v[6:7], v[64:65] op_sel:[0,0,1] op_sel_hi:[1,0,0]
	v_mov_b32_e32 v49, v51
	v_pk_add_f32 v[50:51], v[26:27], v[58:59]
	v_pk_add_f32 v[60:61], v[26:27], v[58:59] neg_lo:[0,1] neg_hi:[0,1]
	v_mov_b32_e32 v69, v19
	v_pk_mul_f32 v[18:19], v[60:61], s[18:19] op_sel:[1,0] op_sel_hi:[0,0]
	v_mov_b32_e32 v24, v50
	v_mov_b32_e32 v25, v61
	;; [unrolled: 1-line block ×3, first 2 shown]
	v_pk_fma_f32 v[62:63], v[50:51], s[0:1], v[18:19] op_sel_hi:[1,0,1]
	v_pk_fma_f32 v[64:65], v[50:51], s[0:1], v[18:19] op_sel_hi:[1,0,1] neg_lo:[0,0,1] neg_hi:[0,0,1]
	v_pk_mul_f32 v[18:19], v[24:25], s[2:3]
	v_mov_b32_e32 v73, v45
	v_mov_b32_e32 v44, v51
	v_mov_b32_e32 v45, v60
	v_mov_b32_e32 v18, v19
	v_mov_b32_e32 v57, v53
	v_pk_mul_f32 v[52:53], v[44:45], s[2:3]
	v_pk_fma_f32 v[66:67], v[24:25], s[2:3], v[18:19] neg_lo:[0,0,1] neg_hi:[0,0,1]
	v_pk_fma_f32 v[18:19], v[24:25], s[2:3], v[18:19]
	v_mov_b32_e32 v54, v62
	v_mov_b32_e32 v62, v53
	;; [unrolled: 1-line block ×3, first 2 shown]
	v_pk_add_f32 v[78:79], v[68:69], v[34:35] neg_lo:[0,1] neg_hi:[0,1]
	v_pk_fma_f32 v[74:75], v[44:45], s[2:3], v[62:63]
	v_pk_fma_f32 v[24:25], v[44:45], s[2:3], v[18:19] neg_lo:[1,0,0] neg_hi:[1,0,0]
	v_pk_add_f32 v[76:77], v[68:69], v[34:35]
	v_pk_mul_f32 v[44:45], v[78:79], s[22:23] op_sel:[1,0] op_sel_hi:[0,0]
	v_pk_add_f32 v[86:87], v[28:29], v[56:57] neg_lo:[0,1] neg_hi:[0,1]
	v_mov_b32_e32 v55, v65
	v_pk_fma_f32 v[80:81], v[76:77], s[20:21], v[44:45] op_sel_hi:[1,0,1]
	v_pk_fma_f32 v[82:83], v[76:77], s[20:21], v[44:45] op_sel_hi:[1,0,1] neg_lo:[0,0,1] neg_hi:[0,0,1]
	v_pk_add_f32 v[84:85], v[28:29], v[56:57]
	v_pk_mul_f32 v[52:53], v[86:87], s[24:25] op_sel:[1,0] op_sel_hi:[0,0]
	v_pk_add_f32 v[54:55], v[16:17], v[54:55]
	v_mov_b32_e32 v44, v80
	v_mov_b32_e32 v45, v83
	v_pk_fma_f32 v[88:89], v[84:85], s[2:3], v[52:53] op_sel_hi:[1,0,1]
	v_pk_fma_f32 v[90:91], v[84:85], s[2:3], v[52:53] op_sel_hi:[1,0,1] neg_lo:[0,0,1] neg_hi:[0,0,1]
	v_pk_add_f32 v[44:45], v[44:45], v[54:55]
	v_mov_b32_e32 v52, v88
	v_mov_b32_e32 v53, v91
	;; [unrolled: 1-line block ×4, first 2 shown]
	v_pk_add_f32 v[44:45], v[52:53], v[44:45]
	v_mov_b32_e32 v52, v84
	v_mov_b32_e32 v53, v76
	v_pk_mul_f32 v[54:55], v[54:55], s[22:23]
	v_pk_add_f32 v[66:67], v[16:17], v[66:67]
	v_pk_fma_f32 v[92:93], v[52:53], s[20:21], v[54:55] neg_lo:[0,0,1] neg_hi:[0,0,1]
	v_pk_fma_f32 v[94:95], v[52:53], s[20:21], v[54:55]
	v_mov_b32_e32 v24, v93
	v_mov_b32_e32 v52, v85
	;; [unrolled: 1-line block ×3, first 2 shown]
	v_pk_add_f32 v[66:67], v[24:25], v[66:67]
	v_pk_mul_f32 v[52:53], v[52:53], s[20:21]
	v_mov_b32_e32 v54, v86
	v_mov_b32_e32 v55, v78
	v_mov_b32_e32 v62, v17
	v_pk_add_f32 v[66:67], v[92:93], v[66:67]
	v_pk_fma_f32 v[92:93], v[54:55], s[22:23], v[52:53] neg_lo:[1,0,0] neg_hi:[1,0,0]
	v_pk_fma_f32 v[52:53], v[54:55], s[22:23], v[52:53]
	v_pk_add_f32 v[74:75], v[62:63], v[74:75]
	v_mov_b32_e32 v24, v53
	v_pk_add_f32 v[54:55], v[24:25], v[74:75]
	v_pk_add_f32 v[98:99], v[48:49], v[32:33] neg_lo:[0,1] neg_hi:[0,1]
	v_pk_add_f32 v[74:75], v[52:53], v[54:55]
	v_pk_add_f32 v[96:97], v[48:49], v[32:33]
	v_pk_mul_f32 v[52:53], v[98:99], s[26:27] op_sel:[1,0] op_sel_hi:[0,0]
	v_pk_fma_f32 v[100:101], v[96:97], s[16:17], v[52:53] op_sel_hi:[1,0,1]
	v_pk_fma_f32 v[102:103], v[96:97], s[16:17], v[52:53] op_sel_hi:[1,0,1] neg_lo:[0,0,1] neg_hi:[0,0,1]
	v_mov_b32_e32 v52, v100
	v_mov_b32_e32 v53, v103
	v_pk_add_f32 v[52:53], v[52:53], v[44:45]
	v_mov_b32_e32 v44, v96
	v_mov_b32_e32 v45, v99
	v_pk_mul_f32 v[54:55], v[44:45], s[0:1]
	v_pk_add_f32 v[110:111], v[30:31], v[72:73] neg_lo:[0,1] neg_hi:[0,1]
	v_mov_b32_e32 v24, v55
	v_pk_fma_f32 v[104:105], v[44:45], s[0:1], v[24:25] neg_lo:[0,0,1] neg_hi:[0,0,1]
	v_pk_fma_f32 v[106:107], v[44:45], s[0:1], v[24:25]
	v_pk_mul_f32 v[44:45], v[60:61], s[30:31] op_sel:[1,0] op_sel_hi:[0,0]
	v_pk_fma_f32 v[112:113], v[50:51], s[28:29], v[44:45] op_sel_hi:[1,0,1]
	v_pk_fma_f32 v[114:115], v[50:51], s[28:29], v[44:45] op_sel_hi:[1,0,1] neg_lo:[0,0,1] neg_hi:[0,0,1]
	v_pk_mul_f32 v[54:55], v[78:79], s[18:19] op_sel:[1,0] op_sel_hi:[0,0]
	v_mov_b32_e32 v44, v112
	v_mov_b32_e32 v45, v115
	v_pk_fma_f32 v[116:117], v[76:77], s[0:1], v[54:55] op_sel_hi:[1,0,1]
	v_pk_fma_f32 v[118:119], v[76:77], s[0:1], v[54:55] op_sel_hi:[1,0,1] neg_lo:[0,0,1] neg_hi:[0,0,1]
	v_pk_add_f32 v[44:45], v[16:17], v[44:45]
	v_mov_b32_e32 v54, v116
	v_mov_b32_e32 v55, v119
	s_mov_b32 s18, 0xbf7d64f0
	v_pk_add_f32 v[44:45], v[54:55], v[44:45]
	v_pk_mul_f32 v[54:55], v[86:87], s[18:19] op_sel:[1,0] op_sel_hi:[0,0]
	v_pk_fma_f32 v[120:121], v[84:85], s[16:17], v[54:55] op_sel_hi:[1,0,1]
	v_pk_fma_f32 v[122:123], v[84:85], s[16:17], v[54:55] op_sel_hi:[1,0,1] neg_lo:[0,0,1] neg_hi:[0,0,1]
	v_mov_b32_e32 v54, v120
	v_mov_b32_e32 v55, v123
	v_pk_add_f32 v[44:45], v[54:55], v[44:45]
	v_pk_mul_f32 v[54:55], v[98:99], s[22:23] op_sel:[1,0] op_sel_hi:[0,0]
	v_pk_fma_f32 v[124:125], v[96:97], s[20:21], v[54:55] op_sel_hi:[1,0,1]
	v_pk_fma_f32 v[126:127], v[96:97], s[20:21], v[54:55] op_sel_hi:[1,0,1] neg_lo:[0,0,1] neg_hi:[0,0,1]
	v_mov_b32_e32 v54, v124
	v_mov_b32_e32 v55, v127
	v_pk_add_f32 v[108:109], v[30:31], v[72:73]
	v_pk_add_f32 v[44:45], v[54:55], v[44:45]
	v_pk_mul_f32 v[54:55], v[110:111], s[34:35] op_sel:[1,0] op_sel_hi:[0,0]
	v_pk_fma_f32 v[128:129], v[108:109], s[2:3], v[54:55] op_sel_hi:[1,0,1]
	v_pk_fma_f32 v[130:131], v[108:109], s[2:3], v[54:55] op_sel_hi:[1,0,1] neg_lo:[0,0,1] neg_hi:[0,0,1]
	v_mov_b32_e32 v54, v128
	v_mov_b32_e32 v55, v131
	v_pk_add_f32 v[44:45], v[54:55], v[44:45]
	v_pk_mul_f32 v[54:55], v[110:111], s[36:37] op_sel:[1,0] op_sel_hi:[0,0]
	v_pk_fma_f32 v[132:133], v[108:109], s[28:29], v[54:55] op_sel_hi:[1,0,1]
	v_pk_fma_f32 v[138:139], v[108:109], s[28:29], v[54:55] op_sel_hi:[1,0,1] neg_lo:[0,0,1] neg_hi:[0,0,1]
	v_mov_b32_e32 v54, v132
	v_mov_b32_e32 v55, v139
	v_pk_add_f32 v[54:55], v[54:55], v[52:53]
	v_pk_mul_f32 v[52:53], v[60:61], s[18:19] op_sel:[1,0] op_sel_hi:[0,0]
	v_pk_fma_f32 v[134:135], v[50:51], s[16:17], v[52:53] op_sel_hi:[1,0,1]
	v_pk_fma_f32 v[140:141], v[50:51], s[16:17], v[52:53] op_sel_hi:[1,0,1] neg_lo:[0,0,1] neg_hi:[0,0,1]
	v_pk_mul_f32 v[142:143], v[78:79], s[24:25] op_sel:[1,0] op_sel_hi:[0,0]
	v_mov_b32_e32 v52, v134
	v_mov_b32_e32 v53, v141
	v_pk_fma_f32 v[144:145], v[76:77], s[2:3], v[142:143] op_sel_hi:[1,0,1]
	v_pk_fma_f32 v[142:143], v[76:77], s[2:3], v[142:143] op_sel_hi:[1,0,1] neg_lo:[0,0,1] neg_hi:[0,0,1]
	v_pk_add_f32 v[52:53], v[16:17], v[52:53]
	v_mov_b32_e32 v146, v144
	v_mov_b32_e32 v147, v143
	s_mov_b32 s24, s1
	v_pk_add_f32 v[52:53], v[146:147], v[52:53]
	v_pk_mul_f32 v[146:147], v[86:87], s[24:25] op_sel:[1,0] op_sel_hi:[0,0]
	v_pk_fma_f32 v[148:149], v[84:85], s[0:1], v[146:147] op_sel_hi:[1,0,1]
	v_pk_fma_f32 v[146:147], v[84:85], s[0:1], v[146:147] op_sel_hi:[1,0,1] neg_lo:[0,0,1] neg_hi:[0,0,1]
	v_mov_b32_e32 v152, v148
	v_mov_b32_e32 v153, v147
	v_pk_add_f32 v[52:53], v[152:153], v[52:53]
	v_pk_mul_f32 v[152:153], v[98:99], s[30:31] op_sel:[1,0] op_sel_hi:[0,0]
	v_pk_fma_f32 v[154:155], v[96:97], s[28:29], v[152:153] op_sel_hi:[1,0,1]
	v_pk_fma_f32 v[152:153], v[96:97], s[28:29], v[152:153] op_sel_hi:[1,0,1] neg_lo:[0,0,1] neg_hi:[0,0,1]
	v_mov_b32_e32 v156, v154
	v_mov_b32_e32 v157, v153
	;; [unrolled: 6-line block ×3, first 2 shown]
	v_pk_mul_f32 v[60:61], v[60:61], s[22:23] op_sel:[1,0] op_sel_hi:[0,0]
	v_pk_add_f32 v[52:53], v[160:161], v[52:53]
	v_pk_fma_f32 v[160:161], v[50:51], s[20:21], v[60:61] op_sel_hi:[1,0,1]
	v_pk_fma_f32 v[60:61], v[50:51], s[20:21], v[60:61] op_sel_hi:[1,0,1] neg_lo:[0,0,1] neg_hi:[0,0,1]
	v_pk_mul_f32 v[78:79], v[78:79], s[26:27] op_sel:[1,0] op_sel_hi:[0,0]
	v_mov_b32_e32 v50, v160
	v_mov_b32_e32 v51, v61
	v_pk_fma_f32 v[162:163], v[76:77], s[16:17], v[78:79] op_sel_hi:[1,0,1]
	v_pk_fma_f32 v[76:77], v[76:77], s[16:17], v[78:79] op_sel_hi:[1,0,1] neg_lo:[0,0,1] neg_hi:[0,0,1]
	v_pk_add_f32 v[26:27], v[16:17], v[26:27]
	v_pk_add_f32 v[50:51], v[16:17], v[50:51]
	v_mov_b32_e32 v78, v162
	v_mov_b32_e32 v79, v77
	v_pk_add_f32 v[26:27], v[26:27], v[68:69]
	v_pk_add_f32 v[50:51], v[78:79], v[50:51]
	v_pk_mul_f32 v[78:79], v[86:87], s[30:31] op_sel:[1,0] op_sel_hi:[0,0]
	v_pk_add_f32 v[26:27], v[26:27], v[28:29]
	v_pk_fma_f32 v[86:87], v[84:85], s[28:29], v[78:79] op_sel_hi:[1,0,1]
	v_pk_fma_f32 v[78:79], v[84:85], s[28:29], v[78:79] op_sel_hi:[1,0,1] neg_lo:[0,0,1] neg_hi:[0,0,1]
	v_pk_add_f32 v[26:27], v[26:27], v[48:49]
	v_mov_b32_e32 v84, v86
	v_mov_b32_e32 v85, v79
	v_pk_add_f32 v[26:27], v[26:27], v[30:31]
	v_mov_b32_e32 v115, v113
	v_pk_add_f32 v[50:51], v[84:85], v[50:51]
	v_pk_mul_f32 v[84:85], v[98:99], s[34:35] op_sel:[1,0] op_sel_hi:[0,0]
	v_pk_add_f32 v[26:27], v[26:27], v[72:73]
	v_pk_add_f32 v[28:29], v[16:17], v[114:115]
	v_mov_b32_e32 v119, v117
	v_pk_fma_f32 v[164:165], v[96:97], s[2:3], v[84:85] op_sel_hi:[1,0,1]
	v_pk_fma_f32 v[84:85], v[96:97], s[2:3], v[84:85] op_sel_hi:[1,0,1] neg_lo:[0,0,1] neg_hi:[0,0,1]
	v_pk_add_f32 v[26:27], v[26:27], v[32:33]
	v_pk_add_f32 v[28:29], v[118:119], v[28:29]
	v_mov_b32_e32 v123, v121
	v_mov_b32_e32 v166, v164
	v_mov_b32_e32 v167, v85
	v_mul_u32_u24_e32 v19, 0xbb, v71
	v_pk_add_f32 v[26:27], v[26:27], v[56:57]
	v_pk_add_f32 v[28:29], v[122:123], v[28:29]
	v_mov_b32_e32 v127, v125
	v_pk_add_f32 v[50:51], v[166:167], v[50:51]
	v_pk_mul_f32 v[166:167], v[110:111], s[24:25] op_sel:[1,0] op_sel_hi:[0,0]
	v_add_u32_sdwa v19, v19, v136 dst_sel:DWORD dst_unused:UNUSED_PAD src0_sel:DWORD src1_sel:BYTE_0
	v_pk_add_f32 v[26:27], v[26:27], v[34:35]
	v_pk_add_f32 v[28:29], v[126:127], v[28:29]
	v_mov_b32_e32 v131, v129
	v_pk_fma_f32 v[168:169], v[108:109], s[0:1], v[166:167] op_sel_hi:[1,0,1]
	v_pk_fma_f32 v[166:167], v[108:109], s[0:1], v[166:167] op_sel_hi:[1,0,1] neg_lo:[0,0,1] neg_hi:[0,0,1]
	v_add_lshl_u32 v144, v191, v19, 3
	v_pk_add_f32 v[26:27], v[26:27], v[58:59]
	v_pk_add_f32 v[28:29], v[130:131], v[28:29]
	v_mov_b32_e32 v65, v63
	v_mov_b32_e32 v141, v135
	;; [unrolled: 1-line block ×4, first 2 shown]
	ds_write2_b64 v144, v[26:27], v[28:29] offset1:17
	v_pk_add_f32 v[26:27], v[16:17], v[64:65]
	v_mov_b32_e32 v83, v81
	v_pk_add_f32 v[28:29], v[16:17], v[140:141]
	v_mov_b32_e32 v143, v145
	;; [unrolled: 2-line block ×3, first 2 shown]
	v_mov_b32_e32 v111, v98
	s_mov_b32 s19, s1
	v_pk_add_f32 v[26:27], v[82:83], v[26:27]
	v_mov_b32_e32 v91, v89
	v_pk_add_f32 v[28:29], v[142:143], v[28:29]
	v_mov_b32_e32 v147, v149
	v_mov_b32_e32 v96, v109
	s_mov_b32 s2, s16
	s_mov_b32 s3, s0
	v_pk_mul_f32 v[98:99], v[110:111], s[18:19]
	v_pk_add_f32 v[26:27], v[90:91], v[26:27]
	v_mov_b32_e32 v103, v101
	v_pk_add_f32 v[28:29], v[146:147], v[28:29]
	v_mov_b32_e32 v153, v155
	v_pk_fma_f32 v[110:111], v[96:97], s[2:3], v[98:99]
	v_pk_add_f32 v[26:27], v[102:103], v[26:27]
	v_mov_b32_e32 v139, v133
	v_pk_add_f32 v[28:29], v[152:153], v[28:29]
	v_mov_b32_e32 v157, v159
	v_mov_b32_e32 v19, v74
	;; [unrolled: 1-line block ×3, first 2 shown]
	s_mov_b32 s17, s18
	v_pk_add_f32 v[26:27], v[138:139], v[26:27]
	v_pk_add_f32 v[28:29], v[156:157], v[28:29]
	v_mov_b32_e32 v61, v161
	v_pk_add_f32 v[30:31], v[110:111], v[18:19]
	v_mov_b32_e32 v19, v25
	v_pk_mul_f32 v[172:173], v[170:171], s[16:17]
	ds_write2_b64 v144, v[26:27], v[28:29] offset0:34 offset1:51
	v_pk_add_f32 v[26:27], v[16:17], v[60:61]
	v_mov_b32_e32 v77, v163
	v_pk_add_f32 v[16:17], v[16:17], v[18:19]
	v_mov_b32_e32 v18, v95
	v_mov_b32_e32 v19, v93
	;; [unrolled: 1-line block ×3, first 2 shown]
	v_pk_mul_f32 v[108:109], v[96:97], s[2:3]
	v_pk_fma_f32 v[96:97], v[96:97], s[2:3], v[98:99] neg_lo:[0,0,1] neg_hi:[0,0,1]
	v_pk_add_f32 v[26:27], v[76:77], v[26:27]
	v_mov_b32_e32 v79, v87
	v_pk_add_f32 v[16:17], v[18:19], v[16:17]
	v_mov_b32_e32 v95, v92
	v_pk_fma_f32 v[172:173], v[170:171], s[16:17], v[24:25]
	v_pk_add_f32 v[26:27], v[78:79], v[26:27]
	v_mov_b32_e32 v85, v165
	v_pk_fma_f32 v[28:29], v[170:171], s[16:17], v[24:25] neg_lo:[0,0,1] neg_hi:[0,0,1]
	v_mov_b32_e32 v105, v98
	v_mov_b32_e32 v67, v108
	v_pk_add_f32 v[16:17], v[94:95], v[16:17]
	v_mov_b32_e32 v107, v97
	v_pk_add_f32 v[26:27], v[84:85], v[26:27]
	v_mov_b32_e32 v167, v169
	v_mov_b32_e32 v29, v31
	v_pk_add_f32 v[30:31], v[104:105], v[66:67]
	v_pk_add_f32 v[16:17], v[106:107], v[16:17]
	v_mov_b32_e32 v173, v96
	v_pk_add_f32 v[26:27], v[166:167], v[26:27]
	v_pk_add_f32 v[28:29], v[28:29], v[30:31]
	;; [unrolled: 1-line block ×3, first 2 shown]
	v_add_u32_e32 v16, 0xa00, v150
	ds_write2_b64 v144, v[26:27], v[28:29] offset0:68 offset1:85
	ds_write2_b64 v144, v[48:49], v[50:51] offset0:102 offset1:119
	;; [unrolled: 1-line block ×3, first 2 shown]
	ds_write_b64 v144, v[44:45] offset:1360
	s_waitcnt lgkmcnt(0)
	s_barrier
	ds_read2_b64 v[60:63], v16 offset0:54 offset1:241
	ds_read2_b64 v[56:59], v150 offset1:187
	v_add_u32_e32 v16, 0x1600, v150
	ds_read2_b64 v[64:67], v16 offset0:44 offset1:231
	s_movk_i32 s0, 0x55
	v_cmp_gt_u16_e64 s[2:3], s0, v185
	s_and_saveexec_b64 s[0:1], s[2:3]
	s_cbranch_execz .LBB0_9
; %bb.8:
	v_add_u32_e32 v16, 0x200, v150
	ds_read2_b64 v[48:51], v16 offset0:38 offset1:225
	v_add_u32_e32 v16, 0xe00, v150
	ds_read2_b64 v[52:55], v16 offset0:28 offset1:215
	;; [unrolled: 2-line block ×3, first 2 shown]
.LBB0_9:
	s_or_b64 exec, exec, s[0:1]
	v_mad_u64_u32 v[16:17], s[0:1], v185, 40, s[6:7]
	global_load_dwordx4 v[32:35], v[16:17], off offset:1360
	global_load_dwordx4 v[28:31], v[16:17], off offset:1376
	global_load_dwordx2 v[76:77], v[16:17], off offset:1392
	v_add_u32_e32 v16, 0x66, v185
	v_add_u32_e32 v17, 0xffffffab, v185
	v_cndmask_b32_e64 v16, v17, v16, s[2:3]
	v_mul_hi_i32_i24_e32 v17, 40, v16
	v_mul_i32_i24_e32 v16, 40, v16
	v_lshl_add_u64 v[68:69], s[6:7], 0, v[16:17]
	global_load_dwordx4 v[16:19], v[68:69], off offset:1360
	global_load_dwordx4 v[24:27], v[68:69], off offset:1376
	global_load_dwordx2 v[158:159], v[68:69], off offset:1392
	s_waitcnt lgkmcnt(1)
	v_mov_b32_e32 v74, v55
	s_waitcnt lgkmcnt(0)
	v_mov_b32_e32 v78, v45
	s_mov_b32 s0, 0x3f5db3d7
	v_mov_b32_e32 v80, v47
	v_mov_b32_e32 v68, v51
	;; [unrolled: 1-line block ×3, first 2 shown]
	s_mov_b32 s6, 0.5
	s_mov_b32 s7, s0
	s_mov_b32 s17, 0xbf5db3d7
	;; [unrolled: 1-line block ×3, first 2 shown]
	v_lshl_add_u32 v151, v185, 3, v190
	s_waitcnt vmcnt(5)
	v_pk_mul_f32 v[82:83], v[58:59], v[32:33] op_sel_hi:[1,0]
	v_mov_b32_e32 v84, v33
	v_mov_b32_e32 v86, v35
	s_waitcnt vmcnt(4)
	v_pk_mul_f32 v[88:89], v[62:63], v[28:29] op_sel:[0,1]
	v_mov_b32_e32 v90, v31
	s_waitcnt vmcnt(3)
	v_pk_mul_f32 v[92:93], v[66:67], v[76:77] op_sel:[0,1]
	v_pk_fma_f32 v[84:85], v[58:59], v[84:85], v[82:83] op_sel:[0,0,1] op_sel_hi:[1,1,0]
	v_pk_fma_f32 v[58:59], v[58:59], v[32:33], v[82:83] op_sel:[0,1,1] op_sel_hi:[1,1,0] neg_lo:[1,0,0] neg_hi:[1,0,0]
	v_pk_mul_f32 v[82:83], v[60:61], v[86:87] op_sel_hi:[1,0]
	v_pk_fma_f32 v[86:87], v[62:63], v[28:29], v[88:89] op_sel:[1,0,0] op_sel_hi:[0,1,1]
	v_pk_fma_f32 v[62:63], v[62:63], v[28:29], v[88:89] op_sel:[1,0,0] op_sel_hi:[0,0,1] neg_lo:[0,0,1] neg_hi:[0,0,1]
	v_pk_mul_f32 v[88:89], v[64:65], v[90:91] op_sel_hi:[1,0]
	v_pk_fma_f32 v[90:91], v[66:67], v[76:77], v[92:93] op_sel:[1,0,0] op_sel_hi:[0,1,1]
	v_pk_fma_f32 v[66:67], v[66:67], v[76:77], v[92:93] op_sel:[1,0,0] op_sel_hi:[0,0,1] neg_lo:[0,0,1] neg_hi:[0,0,1]
	v_mov_b32_e32 v85, v59
	v_pk_fma_f32 v[58:59], v[60:61], v[34:35], v[82:83] op_sel:[0,0,1] op_sel_hi:[1,1,0] neg_lo:[0,0,1] neg_hi:[0,0,1]
	v_pk_fma_f32 v[60:61], v[60:61], v[34:35], v[82:83] op_sel:[0,0,1] op_sel_hi:[1,0,0]
	v_mov_b32_e32 v87, v63
	v_pk_fma_f32 v[62:63], v[64:65], v[30:31], v[88:89] op_sel:[0,0,1] op_sel_hi:[1,1,0] neg_lo:[0,0,1] neg_hi:[0,0,1]
	v_pk_fma_f32 v[64:65], v[64:65], v[30:31], v[88:89] op_sel:[0,0,1] op_sel_hi:[1,0,0]
	v_mov_b32_e32 v91, v67
	s_waitcnt vmcnt(2)
	v_pk_mul_f32 v[66:67], v[50:51], v[16:17]
	v_pk_mul_f32 v[82:83], v[52:53], v[18:19]
	s_waitcnt vmcnt(1)
	v_pk_mul_f32 v[88:89], v[54:55], v[24:25]
	v_mov_b32_e32 v66, v25
	v_pk_mul_f32 v[92:93], v[44:45], v[26:27]
	v_mov_b32_e32 v82, v27
	s_waitcnt vmcnt(0)
	v_pk_mul_f32 v[94:95], v[46:47], v[158:159]
	v_mov_b32_e32 v59, v61
	v_mov_b32_e32 v63, v65
	;; [unrolled: 1-line block ×3, first 2 shown]
	v_pk_add_f32 v[96:97], v[86:87], v[90:91]
	v_pk_add_f32 v[98:99], v[86:87], v[90:91] neg_lo:[0,1] neg_hi:[0,1]
	v_mov_b32_e32 v92, v67
	v_mov_b32_e32 v94, v83
	v_pk_mul_f32 v[66:67], v[54:55], v[66:67]
	v_mov_b32_e32 v102, v93
	v_pk_mul_f32 v[82:83], v[44:45], v[82:83]
	v_mov_b32_e32 v104, v95
	v_pk_add_f32 v[106:107], v[56:57], v[58:59]
	v_pk_add_f32 v[108:109], v[58:59], v[62:63]
	v_pk_add_f32 v[58:59], v[58:59], v[62:63] neg_lo:[0,1] neg_hi:[0,1]
	v_mov_b32_e32 v60, v17
	v_mov_b32_e32 v64, v19
	v_pk_add_f32 v[86:87], v[84:85], v[86:87]
	v_mov_b32_e32 v100, v89
	v_pk_mul_f32 v[88:89], v[46:47], v[88:89]
	v_pk_fma_f32 v[84:85], v[96:97], 0.5, v[84:85] op_sel_hi:[1,0,1] neg_lo:[1,0,0] neg_hi:[1,0,0]
	v_pk_mul_f32 v[96:97], v[98:99], s[0:1] op_sel_hi:[1,0]
	v_pk_fma_f32 v[66:67], v[74:75], v[24:25], v[66:67]
	v_pk_fma_f32 v[74:75], v[44:45], v[26:27], v[102:103] neg_lo:[0,0,1] neg_hi:[0,0,1]
	v_pk_fma_f32 v[78:79], v[78:79], v[26:27], v[82:83]
	v_pk_fma_f32 v[82:83], v[46:47], v[158:159], v[104:105] neg_lo:[0,0,1] neg_hi:[0,0,1]
	v_pk_fma_f32 v[44:45], v[108:109], 0.5, v[56:57] op_sel_hi:[1,0,1] neg_lo:[1,0,0] neg_hi:[1,0,0]
	v_pk_mul_f32 v[46:47], v[58:59], s[0:1] op_sel_hi:[1,0]
	v_pk_mul_f32 v[60:61], v[50:51], v[60:61]
	v_pk_mul_f32 v[64:65], v[52:53], v[64:65]
	v_pk_fma_f32 v[92:93], v[50:51], v[16:17], v[92:93] neg_lo:[0,0,1] neg_hi:[0,0,1]
	v_pk_fma_f32 v[94:95], v[52:53], v[18:19], v[94:95] neg_lo:[0,0,1] neg_hi:[0,0,1]
	v_pk_add_f32 v[50:51], v[96:97], v[84:85] op_sel:[1,0] op_sel_hi:[0,1]
	v_pk_add_f32 v[52:53], v[44:45], v[46:47] op_sel:[0,1] op_sel_hi:[1,0]
	v_pk_add_f32 v[56:57], v[44:45], v[46:47] op_sel:[0,1] op_sel_hi:[1,0] neg_lo:[0,1] neg_hi:[0,1]
	v_pk_add_f32 v[46:47], v[84:85], v[96:97] op_sel:[0,1] op_sel_hi:[1,0] neg_lo:[0,1] neg_hi:[0,1]
	v_pk_fma_f32 v[64:65], v[72:73], v[18:19], v[64:65]
	v_pk_fma_f32 v[72:73], v[54:55], v[24:25], v[100:101] neg_lo:[0,0,1] neg_hi:[0,0,1]
	v_mov_b32_e32 v54, v52
	v_mov_b32_e32 v55, v57
	;; [unrolled: 1-line block ×5, first 2 shown]
	v_pk_mul_f32 v[50:51], v[50:51], s[6:7] op_sel:[1,0]
	s_mov_b32 s1, s6
	v_pk_add_f32 v[58:59], v[106:107], v[62:63]
	v_pk_add_f32 v[62:63], v[86:87], v[90:91]
	v_pk_fma_f32 v[84:85], v[46:47], s[0:1], v[50:51]
	v_pk_fma_f32 v[46:47], v[46:47], s[0:1], v[50:51] op_sel_hi:[0,1,1] neg_lo:[0,0,1] neg_hi:[0,0,1]
	v_pk_mul_f32 v[50:51], v[52:53], 0.5 op_sel_hi:[1,0]
	v_pk_add_f32 v[44:45], v[58:59], v[62:63] op_sel:[0,1] op_sel_hi:[1,0]
	v_pk_fma_f32 v[86:87], v[52:53], s[16:17], v[50:51] op_sel:[0,0,1] op_sel_hi:[1,1,0] neg_lo:[0,0,1] neg_hi:[0,0,1]
	v_pk_add_f32 v[52:53], v[58:59], v[62:63] op_sel:[0,1] op_sel_hi:[1,0] neg_lo:[0,1] neg_hi:[0,1]
	v_pk_add_f32 v[58:59], v[48:49], v[94:95]
	v_pk_mul_f32 v[68:69], v[68:69], v[16:17]
	v_pk_fma_f32 v[80:81], v[80:81], v[158:159], v[88:89]
	v_mov_b32_e32 v85, v47
	v_mov_b32_e32 v59, v64
	v_pk_add_f32 v[46:47], v[54:55], v[84:85]
	v_pk_add_f32 v[54:55], v[54:55], v[84:85] neg_lo:[0,1] neg_hi:[0,1]
	v_pk_add_f32 v[84:85], v[48:49], v[58:59]
	v_add_f32_e32 v59, v72, v82
	v_mov_b32_e32 v69, v66
	v_mov_b32_e32 v61, v80
	v_pk_add_f32 v[88:89], v[92:93], v[72:73]
	v_fmac_f32_e32 v92, -0.5, v59
	v_sub_f32_e32 v59, v66, v80
	v_pk_add_f32 v[60:61], v[68:69], v[60:61]
	v_pk_add_f32 v[50:51], v[56:57], v[86:87]
	v_pk_add_f32 v[56:57], v[56:57], v[86:87] neg_lo:[0,1] neg_hi:[0,1]
	v_pk_add_f32 v[62:63], v[94:95], v[74:75]
	v_pk_add_f32 v[86:87], v[64:65], v[78:79]
	v_fmamk_f32 v84, v59, 0x3f5db3d7, v92
	v_fmac_f32_e32 v92, 0xbf5db3d7, v59
	v_pk_add_f32 v[66:67], v[60:61], v[66:67]
	v_fmac_f32_e32 v60, -0.5, v61
	v_sub_f32_e32 v59, v72, v82
	v_fmamk_f32 v68, v59, 0xbf5db3d7, v60
	v_fmac_f32_e32 v60, 0x3f5db3d7, v59
	v_mov_b32_e32 v59, v85
	v_mov_b32_e32 v75, v78
	;; [unrolled: 1-line block ×5, first 2 shown]
	v_pk_add_f32 v[72:73], v[58:59], v[74:75]
	v_pk_fma_f32 v[48:49], v[62:63], 0.5, v[48:49] op_sel_hi:[1,0,1] neg_lo:[1,0,0] neg_hi:[1,0,0]
	v_pk_add_f32 v[58:59], v[64:65], v[78:79] neg_lo:[0,1] neg_hi:[0,1]
	v_mov_b32_e32 v89, v66
	v_pk_fma_f32 v[62:63], v[58:59], s[0:1], v[48:49] op_sel_hi:[1,0,1]
	v_pk_fma_f32 v[48:49], v[58:59], s[0:1], v[48:49] op_sel_hi:[1,0,1] neg_lo:[1,0,0] neg_hi:[1,0,0]
	v_pk_mul_f32 v[58:59], v[84:85], s[6:7] op_sel_hi:[0,1]
	v_pk_fma_f32 v[66:67], v[68:69], s[0:1], v[58:59]
	v_pk_fma_f32 v[58:59], v[68:69], s[0:1], v[58:59] op_sel_hi:[0,1,1] neg_lo:[0,0,1] neg_hi:[0,0,1]
	v_mov_b32_e32 v61, v92
	v_mov_b32_e32 v67, v59
	v_pk_mul_f32 v[58:59], v[60:61], 0.5 op_sel_hi:[1,0]
	v_mov_b32_e32 v75, v49
	v_mov_b32_e32 v49, v63
	;; [unrolled: 1-line block ×3, first 2 shown]
	v_pk_fma_f32 v[68:69], v[60:61], s[16:17], v[58:59] op_sel:[0,0,1] op_sel_hi:[1,1,0] neg_lo:[0,0,1] neg_hi:[0,0,1]
	v_mov_b32_e32 v74, v62
	v_pk_add_f32 v[64:65], v[88:89], v[82:83]
	v_pk_add_f32 v[62:63], v[48:49], v[68:69]
	v_pk_add_f32 v[68:69], v[48:49], v[68:69] neg_lo:[0,1] neg_hi:[0,1]
	v_add_u32_e32 v48, 0xa00, v151
	v_pk_add_f32 v[58:59], v[72:73], v[64:65]
	v_pk_add_f32 v[60:61], v[74:75], v[66:67]
	v_pk_add_f32 v[64:65], v[72:73], v[64:65] neg_lo:[0,1] neg_hi:[0,1]
	v_pk_add_f32 v[66:67], v[74:75], v[66:67] neg_lo:[0,1] neg_hi:[0,1]
	ds_write2_b64 v48, v[50:51], v[52:53] offset0:54 offset1:241
	v_add_u32_e32 v48, 0x1600, v151
	ds_write2_b64 v151, v[44:45], v[46:47] offset1:187
	ds_write2_b64 v48, v[54:55], v[56:57] offset0:44 offset1:231
	s_mov_b64 s[0:1], exec
	v_accvgpr_read_b32 v143, a1
	s_and_b64 s[6:7], s[0:1], s[2:3]
	v_accvgpr_read_b32 v142, a0
	s_mov_b64 exec, s[6:7]
	s_cbranch_execz .LBB0_11
; %bb.10:
	v_add_u32_e32 v48, 0x200, v151
	ds_write2_b64 v48, v[58:59], v[60:61] offset0:38 offset1:225
	v_add_u32_e32 v48, 0xe00, v151
	ds_write2_b64 v48, v[62:63], v[64:65] offset0:28 offset1:215
	;; [unrolled: 2-line block ×3, first 2 shown]
.LBB0_11:
	s_or_b64 exec, exec, s[0:1]
	s_waitcnt lgkmcnt(0)
	s_barrier
	s_and_saveexec_b64 s[6:7], s[4:5]
	s_cbranch_execz .LBB0_13
; %bb.12:
	v_mov_b32_e32 v71, 0
	v_lshl_add_u64 v[48:49], s[12:13], 0, v[70:71]
	s_mov_b64 s[0:1], 0x2310
	v_lshl_add_u64 v[72:73], v[48:49], 0, s[0:1]
	s_movk_i32 s0, 0x3000
	v_add_co_u32_e64 v78, s[0:1], s0, v48
	global_load_dwordx2 v[98:99], v[72:73], off offset:528
	global_load_dwordx2 v[100:101], v[72:73], off offset:1056
	;; [unrolled: 1-line block ×6, first 2 shown]
	v_addc_co_u32_e64 v79, s[0:1], 0, v49, s[0:1]
	global_load_dwordx2 v[110:111], v[78:79], off offset:912
	v_add_co_u32_e32 v74, vcc, 0x2000, v48
	s_movk_i32 s0, 0x4000
	s_nop 0
	v_addc_co_u32_e32 v75, vcc, 0, v49, vcc
	global_load_dwordx2 v[112:113], v[78:79], off offset:1440
	global_load_dwordx2 v[114:115], v[74:75], off offset:784
	;; [unrolled: 1-line block ×7, first 2 shown]
	v_add_co_u32_e32 v48, vcc, s0, v48
	global_load_dwordx2 v[126:127], v[78:79], off offset:4080
	s_nop 0
	v_addc_co_u32_e32 v49, vcc, 0, v49, vcc
	global_load_dwordx2 v[128:129], v[48:49], off offset:512
	ds_read2_b64 v[72:75], v151 offset1:66
	ds_read2_b64 v[78:81], v151 offset0:132 offset1:198
	global_load_dwordx2 v[48:49], v[48:49], off offset:1040
	v_add_u32_e32 v71, 0x800, v151
	ds_read2_b64 v[82:85], v71 offset0:8 offset1:74
	v_add_u32_e32 v132, 0x1000, v151
	ds_read2_b64 v[86:89], v71 offset0:140 offset1:206
	ds_read2_b64 v[90:93], v132 offset0:16 offset1:82
	;; [unrolled: 1-line block ×3, first 2 shown]
	s_waitcnt vmcnt(16) lgkmcnt(5)
	v_mul_f32_e32 v130, v75, v99
	v_mul_f32_e32 v131, v74, v99
	s_waitcnt vmcnt(15) lgkmcnt(4)
	v_mul_f32_e32 v133, v79, v101
	v_mul_f32_e32 v99, v78, v101
	s_waitcnt vmcnt(14)
	v_mul_f32_e32 v134, v81, v103
	v_mul_f32_e32 v101, v80, v103
	s_waitcnt vmcnt(13) lgkmcnt(3)
	v_mul_f32_e32 v135, v83, v105
	v_mul_f32_e32 v103, v82, v105
	s_waitcnt vmcnt(12)
	v_mul_f32_e32 v136, v85, v107
	v_mul_f32_e32 v105, v84, v107
	s_waitcnt vmcnt(11) lgkmcnt(2)
	v_mul_f32_e32 v137, v87, v109
	v_mul_f32_e32 v107, v86, v109
	s_waitcnt vmcnt(10) lgkmcnt(1)
	v_mul_f32_e32 v138, v91, v111
	v_mul_f32_e32 v109, v90, v111
	s_waitcnt vmcnt(8)
	v_mul_f32_e32 v140, v73, v115
	v_mul_f32_e32 v111, v72, v115
	v_fma_f32 v130, v74, v98, -v130
	v_fmac_f32_e32 v131, v75, v98
	v_fma_f32 v98, v78, v100, -v133
	v_fmac_f32_e32 v99, v79, v100
	;; [unrolled: 2-line block ×6, first 2 shown]
	s_waitcnt vmcnt(7)
	v_mul_f32_e32 v74, v89, v117
	v_mul_f32_e32 v75, v88, v117
	v_fma_f32 v108, v90, v110, -v138
	v_fmac_f32_e32 v109, v91, v110
	v_fma_f32 v110, v72, v114, -v140
	v_fmac_f32_e32 v111, v73, v114
	ds_write2_b64 v151, v[98:99], v[100:101] offset0:132 offset1:198
	ds_write2_b64 v71, v[102:103], v[104:105] offset0:8 offset1:74
	v_fma_f32 v74, v88, v116, -v74
	v_fmac_f32_e32 v75, v89, v116
	ds_write2_b64 v151, v[110:111], v[130:131] offset1:66
	ds_write2_b64 v71, v[106:107], v[74:75] offset0:140 offset1:206
	v_add_u32_e32 v84, 0x1800, v151
	v_mul_f32_e32 v139, v93, v113
	v_mul_f32_e32 v79, v92, v113
	ds_read2_b64 v[72:75], v84 offset0:24 offset1:90
	v_fma_f32 v78, v92, v112, -v139
	v_fmac_f32_e32 v79, v93, v112
	s_waitcnt vmcnt(6) lgkmcnt(5)
	v_mul_f32_e32 v71, v95, v119
	ds_write2_b64 v132, v[108:109], v[78:79] offset0:16 offset1:82
	v_fma_f32 v78, v94, v118, -v71
	v_mul_f32_e32 v79, v94, v119
	s_waitcnt vmcnt(5)
	v_mul_f32_e32 v71, v97, v121
	v_mul_f32_e32 v81, v96, v121
	v_fmac_f32_e32 v79, v95, v118
	v_fma_f32 v80, v96, v120, -v71
	v_fmac_f32_e32 v81, v97, v120
	ds_write2_b64 v132, v[78:79], v[80:81] offset0:148 offset1:214
	ds_read2_b64 v[78:81], v84 offset0:156 offset1:222
	s_waitcnt vmcnt(4) lgkmcnt(3)
	v_mul_f32_e32 v71, v73, v123
	v_mul_f32_e32 v83, v72, v123
	v_fma_f32 v82, v72, v122, -v71
	v_fmac_f32_e32 v83, v73, v122
	s_waitcnt vmcnt(3)
	v_mul_f32_e32 v71, v75, v125
	v_mul_f32_e32 v73, v74, v125
	v_fma_f32 v72, v74, v124, -v71
	v_fmac_f32_e32 v73, v75, v124
	ds_read_b64 v[74:75], v151 offset:8448
	ds_write2_b64 v84, v[82:83], v[72:73] offset0:24 offset1:90
	s_waitcnt vmcnt(2) lgkmcnt(2)
	v_mul_f32_e32 v71, v79, v127
	v_mul_f32_e32 v73, v78, v127
	v_fma_f32 v72, v78, v126, -v71
	v_fmac_f32_e32 v73, v79, v126
	s_waitcnt vmcnt(1)
	v_mul_f32_e32 v71, v81, v129
	v_mul_f32_e32 v79, v80, v129
	v_fma_f32 v78, v80, v128, -v71
	v_fmac_f32_e32 v79, v81, v128
	ds_write2_b64 v84, v[72:73], v[78:79] offset0:156 offset1:222
	s_waitcnt vmcnt(0) lgkmcnt(2)
	v_mul_f32_e32 v71, v75, v49
	v_mul_f32_e32 v73, v74, v49
	v_fma_f32 v72, v74, v48, -v71
	v_fmac_f32_e32 v73, v75, v48
	ds_write_b64 v151, v[72:73] offset:8448
.LBB0_13:
	s_or_b64 exec, exec, s[6:7]
	s_waitcnt lgkmcnt(0)
	s_barrier
	s_and_saveexec_b64 s[0:1], s[4:5]
	s_cbranch_execz .LBB0_15
; %bb.14:
	v_add_u32_e32 v36, 0x800, v151
	ds_read2_b64 v[44:47], v151 offset1:66
	ds_read2_b64 v[50:53], v151 offset0:132 offset1:198
	ds_read2_b64 v[54:57], v36 offset0:8 offset1:74
	;; [unrolled: 1-line block ×3, first 2 shown]
	v_add_u32_e32 v36, 0x1000, v151
	ds_read2_b64 v[62:65], v36 offset0:16 offset1:82
	ds_read2_b64 v[66:69], v36 offset0:148 offset1:214
	v_add_u32_e32 v36, 0x1800, v151
	ds_read2_b64 v[40:43], v36 offset0:24 offset1:90
	ds_read2_b64 v[36:39], v36 offset0:156 offset1:222
	ds_read_b64 v[142:143], v151 offset:8448
.LBB0_15:
	s_or_b64 exec, exec, s[0:1]
	s_waitcnt lgkmcnt(1)
	v_pk_add_f32 v[48:49], v[50:51], v[38:39] neg_lo:[0,1] neg_hi:[0,1]
	v_pk_add_f32 v[124:125], v[50:51], v[38:39]
	v_mov_b32_e32 v99, v48
	v_mov_b32_e32 v98, v124
	v_mov_b32_e32 v124, v49
	v_pk_add_f32 v[48:49], v[52:53], v[36:37] neg_lo:[0,1] neg_hi:[0,1]
	v_pk_add_f32 v[122:123], v[52:53], v[36:37]
	v_mov_b32_e32 v101, v48
	v_mov_b32_e32 v100, v122
	v_mov_b32_e32 v122, v49
	;; [unrolled: 5-line block ×5, first 2 shown]
	v_pk_add_f32 v[48:49], v[60:61], v[66:67] neg_lo:[0,1] neg_hi:[0,1]
	v_pk_add_f32 v[114:115], v[60:61], v[66:67]
	s_waitcnt lgkmcnt(0)
	v_pk_add_f32 v[126:127], v[142:143], v[46:47]
	v_pk_add_f32 v[128:129], v[46:47], v[142:143] neg_lo:[0,1] neg_hi:[0,1]
	v_mov_b32_e32 v108, v114
	v_mov_b32_e32 v109, v48
	;; [unrolled: 1-line block ×3, first 2 shown]
	v_pk_add_f32 v[48:49], v[62:63], v[64:65] neg_lo:[0,1] neg_hi:[0,1]
	v_pk_add_f32 v[112:113], v[62:63], v[64:65]
	s_mov_b32 s38, 0xbf4c4adb
	v_mov_b32_e32 v110, v112
	v_mov_b32_e32 v111, v48
	;; [unrolled: 1-line block ×5, first 2 shown]
	s_mov_b32 s39, 0xbf1a4643
	s_mov_b32 s62, 0x3f763a35
	v_pk_mul_f32 v[188:189], v[48:49], s[38:39]
	v_mov_b32_e32 v72, v126
	v_mov_b32_e32 v73, v128
	s_mov_b32 s0, s39
	s_mov_b32 s1, s38
	;; [unrolled: 1-line block ×3, first 2 shown]
	v_pk_fma_f32 v[48:49], v[72:73], s[0:1], v[188:189] neg_lo:[0,0,1] neg_hi:[0,0,1]
	v_pk_fma_f32 v[194:195], v[72:73], s[0:1], v[188:189]
	v_pk_mul_f32 v[198:199], v[124:125], s[62:63]
	s_mov_b32 s16, s63
	s_mov_b32 s17, s62
	;; [unrolled: 1-line block ×3, first 2 shown]
	v_mov_b32_e32 v49, v195
	v_pk_fma_f32 v[74:75], v[98:99], s[16:17], v[198:199] neg_lo:[0,0,1] neg_hi:[0,0,1]
	v_pk_fma_f32 v[200:201], v[98:99], s[16:17], v[198:199]
	s_mov_b32 s51, 0x3f6eb680
	v_pk_add_f32 v[48:49], v[44:45], v[48:49]
	v_mov_b32_e32 v75, v201
	v_pk_mul_f32 v[202:203], v[122:123], s[50:51]
	s_mov_b32 s24, s51
	s_mov_b32 s25, s50
	;; [unrolled: 1-line block ×3, first 2 shown]
	v_pk_add_f32 v[48:49], v[74:75], v[48:49]
	v_pk_fma_f32 v[74:75], v[100:101], s[24:25], v[202:203] neg_lo:[0,0,1] neg_hi:[0,0,1]
	v_pk_fma_f32 v[204:205], v[100:101], s[24:25], v[202:203]
	s_mov_b32 s47, 0xbf59a7d5
	v_mov_b32_e32 v75, v205
	v_pk_mul_f32 v[206:207], v[120:121], s[46:47]
	s_mov_b32 s6, s47
	s_mov_b32 s7, s46
	;; [unrolled: 1-line block ×3, first 2 shown]
	v_pk_add_f32 v[48:49], v[74:75], v[48:49]
	v_pk_fma_f32 v[74:75], v[102:103], s[6:7], v[206:207] neg_lo:[0,0,1] neg_hi:[0,0,1]
	v_pk_fma_f32 v[208:209], v[102:103], s[6:7], v[206:207]
	s_mov_b32 s45, 0x3dbcf732
	v_mov_b32_e32 v75, v209
	v_pk_mul_f32 v[210:211], v[118:119], s[44:45]
	s_mov_b32 s36, s45
	s_mov_b32 s37, s44
	v_pk_add_f32 v[48:49], v[74:75], v[48:49]
	v_pk_fma_f32 v[74:75], v[104:105], s[36:37], v[210:211] neg_lo:[0,0,1] neg_hi:[0,0,1]
	v_pk_fma_f32 v[212:213], v[104:105], s[36:37], v[210:211]
	s_mov_b32 s49, 0x3f3d2fb0
	s_mov_b32 s48, 0xbf2c7751
	v_mov_b32_e32 v75, v213
	v_pk_mul_f32 v[214:215], v[116:117], s[48:49]
	s_mov_b32 s20, s49
	s_mov_b32 s21, s48
	;; [unrolled: 1-line block ×3, first 2 shown]
	v_pk_add_f32 v[48:49], v[74:75], v[48:49]
	v_pk_fma_f32 v[74:75], v[106:107], s[20:21], v[214:215] neg_lo:[0,0,1] neg_hi:[0,0,1]
	v_pk_fma_f32 v[216:217], v[106:107], s[20:21], v[214:215]
	s_mov_b32 s55, 0xbf7ba420
	v_mov_b32_e32 v75, v217
	v_pk_mul_f32 v[218:219], v[114:115], s[54:55]
	s_mov_b32 s18, s55
	s_mov_b32 s19, s54
	;; [unrolled: 1-line block ×3, first 2 shown]
	v_pk_add_f32 v[48:49], v[74:75], v[48:49]
	v_pk_fma_f32 v[74:75], v[108:109], s[18:19], v[218:219] neg_lo:[0,0,1] neg_hi:[0,0,1]
	v_pk_fma_f32 v[220:221], v[108:109], s[18:19], v[218:219]
	s_mov_b32 s53, 0x3ee437d1
	v_mov_b32_e32 v75, v221
	v_pk_mul_f32 v[222:223], v[112:113], s[52:53]
	s_mov_b32 s26, s53
	s_mov_b32 s27, s52
	v_pk_add_f32 v[48:49], v[74:75], v[48:49]
	v_pk_fma_f32 v[74:75], v[110:111], s[26:27], v[222:223] neg_lo:[0,0,1] neg_hi:[0,0,1]
	v_pk_fma_f32 v[224:225], v[110:111], s[26:27], v[222:223]
	v_mov_b32_e32 v96, v22
	v_mov_b32_e32 v75, v225
	;; [unrolled: 1-line block ×28, first 2 shown]
	v_pk_add_f32 v[48:49], v[74:75], v[48:49]
	s_barrier
	s_and_saveexec_b64 s[22:23], s[4:5]
	s_cbranch_execz .LBB0_17
; %bb.16:
	v_pk_add_f32 v[46:47], v[46:47], v[44:45]
	v_pk_mul_f32 v[182:183], v[72:73], s[0:1]
	v_pk_add_f32 v[46:47], v[50:51], v[46:47]
	s_mov_b32 s28, s51
	v_pk_add_f32 v[46:47], v[52:53], v[46:47]
	v_pk_mul_f32 v[72:73], v[128:129], s[50:51] op_sel_hi:[1,0]
	v_pk_add_f32 v[46:47], v[54:55], v[46:47]
	v_pk_mul_f32 v[50:51], v[124:125], s[48:49]
	v_pk_add_f32 v[46:47], v[56:57], v[46:47]
	v_accvgpr_write_b32 a2, v50
	v_pk_add_f32 v[46:47], v[58:59], v[46:47]
	s_mov_b32 s71, s53
	v_pk_add_f32 v[46:47], v[60:61], v[46:47]
	v_accvgpr_write_b32 a3, v51
	v_pk_add_f32 v[46:47], v[62:63], v[46:47]
	s_mov_b32 s31, 0xbf7ee86f
	v_pk_add_f32 v[46:47], v[64:65], v[46:47]
	s_mov_b32 s66, s31
	;; [unrolled: 2-line block ×4, first 2 shown]
	v_pk_add_f32 v[40:41], v[40:41], v[46:47]
	v_pk_fma_f32 v[46:47], v[98:99], s[20:21], v[50:51]
	v_pk_add_f32 v[40:41], v[42:43], v[40:41]
	v_pk_fma_f32 v[42:43], v[98:99], s[20:21], v[50:51] neg_lo:[1,0,0] neg_hi:[1,0,0]
	v_pk_add_f32 v[36:37], v[36:37], v[40:41]
	v_pk_fma_f32 v[40:41], v[126:127], s[28:29], v[72:73] op_sel:[0,0,1] op_sel_hi:[1,0,0]
	v_pk_add_f32 v[36:37], v[38:39], v[36:37]
	v_pk_fma_f32 v[38:39], v[126:127], s[28:29], v[72:73] op_sel:[0,0,1] op_sel_hi:[1,0,0] neg_lo:[0,0,1] neg_hi:[0,0,1]
	s_mov_b32 s29, 0xbf65296c
	v_mov_b32_e32 v145, v41
	v_mov_b32_e32 v41, v39
	s_mov_b32 s70, s29
	v_pk_add_f32 v[40:41], v[44:45], v[40:41]
	v_mov_b32_e32 v42, v46
	s_mov_b32 s28, s53
	v_pk_mul_f32 v[50:51], v[122:123], s[70:71]
	v_accvgpr_write_b32 a1, v47
	v_pk_add_f32 v[40:41], v[42:43], v[40:41]
	v_pk_fma_f32 v[46:47], v[100:101], s[28:29], v[50:51]
	v_pk_fma_f32 v[42:43], v[100:101], s[28:29], v[50:51] neg_lo:[1,0,0] neg_hi:[1,0,0]
	v_accvgpr_write_b32 a6, v50
	v_accvgpr_write_b32 a7, v51
	v_mov_b32_e32 v42, v46
	v_pk_mul_f32 v[50:51], v[120:121], s[66:67]
	s_mov_b32 s35, 0xbf763a35
	v_accvgpr_write_b32 a5, v47
	v_pk_add_f32 v[40:41], v[42:43], v[40:41]
	v_pk_fma_f32 v[46:47], v[102:103], s[30:31], v[50:51]
	v_pk_fma_f32 v[42:43], v[102:103], s[30:31], v[50:51] neg_lo:[1,0,0] neg_hi:[1,0,0]
	v_accvgpr_write_b32 a10, v50
	s_mov_b32 s60, s35
	s_mov_b32 s61, s63
	v_accvgpr_write_b32 a11, v51
	v_mov_b32_e32 v42, v46
	s_mov_b32 s34, s63
	v_pk_mul_f32 v[50:51], v[118:119], s[60:61]
	v_accvgpr_write_b32 a9, v47
	v_pk_add_f32 v[40:41], v[42:43], v[40:41]
	v_pk_fma_f32 v[46:47], v[104:105], s[34:35], v[50:51]
	v_pk_fma_f32 v[42:43], v[104:105], s[34:35], v[50:51] neg_lo:[1,0,0] neg_hi:[1,0,0]
	v_accvgpr_write_b32 a16, v50
	v_accvgpr_write_b32 a17, v51
	v_mov_b32_e32 v42, v46
	v_pk_mul_f32 v[50:51], v[116:117], s[38:39]
	v_accvgpr_write_b32 a13, v47
	v_pk_add_f32 v[40:41], v[42:43], v[40:41]
	v_pk_fma_f32 v[46:47], v[106:107], s[0:1], v[50:51]
	v_pk_fma_f32 v[42:43], v[106:107], s[0:1], v[50:51] neg_lo:[1,0,0] neg_hi:[1,0,0]
	v_accvgpr_write_b32 a20, v50
	v_accvgpr_write_b32 a21, v51
	v_mov_b32_e32 v42, v46
	;; [unrolled: 8-line block ×3, first 2 shown]
	v_pk_mul_f32 v[50:51], v[112:113], s[54:55]
	v_accvgpr_write_b32 a19, v47
	v_pk_add_f32 v[40:41], v[42:43], v[40:41]
	v_pk_fma_f32 v[46:47], v[110:111], s[18:19], v[50:51]
	v_pk_fma_f32 v[42:43], v[110:111], s[18:19], v[50:51] neg_lo:[1,0,0] neg_hi:[1,0,0]
	v_lshl_add_u32 v71, v174, 3, v190
	v_mov_b32_e32 v42, v46
	v_pk_add_f32 v[36:37], v[142:143], v[36:37]
	v_pk_add_f32 v[40:41], v[42:43], v[40:41]
	ds_write2_b64 v71, v[36:37], v[40:41] offset1:1
	s_mov_b32 s40, s49
	v_pk_mul_f32 v[36:37], v[128:129], s[48:49] op_sel_hi:[1,0]
	v_pk_mul_f32 v[68:69], v[124:125], s[66:67]
	v_pk_fma_f32 v[40:41], v[126:127], s[40:41], v[36:37] op_sel:[0,0,1] op_sel_hi:[1,0,0]
	v_pk_fma_f32 v[132:133], v[126:127], s[40:41], v[36:37] op_sel:[0,0,1] op_sel_hi:[1,0,0] neg_lo:[0,0,1] neg_hi:[0,0,1]
	v_mov_b32_e32 v36, v40
	v_accvgpr_write_b32 a29, v41
	v_mov_b32_e32 v37, v133
	v_pk_fma_f32 v[42:43], v[98:99], s[30:31], v[68:69]
	v_pk_fma_f32 v[40:41], v[98:99], s[30:31], v[68:69] neg_lo:[1,0,0] neg_hi:[1,0,0]
	v_pk_add_f32 v[36:37], v[44:45], v[36:37]
	v_mov_b32_e32 v40, v42
	v_pk_mul_f32 v[140:141], v[122:123], s[38:39]
	v_accvgpr_write_b32 a31, v43
	v_pk_add_f32 v[36:37], v[40:41], v[36:37]
	v_pk_fma_f32 v[42:43], v[100:101], s[0:1], v[140:141]
	v_pk_fma_f32 v[40:41], v[100:101], s[0:1], v[140:141] neg_lo:[1,0,0] neg_hi:[1,0,0]
	v_pk_mul_f32 v[66:67], v[120:121], s[54:55]
	v_mov_b32_e32 v40, v42
	s_mov_b32 s41, 0x3f06c442
	v_accvgpr_write_b32 a33, v43
	v_pk_add_f32 v[36:37], v[40:41], v[36:37]
	v_pk_fma_f32 v[42:43], v[102:103], s[18:19], v[66:67]
	v_pk_fma_f32 v[40:41], v[102:103], s[18:19], v[66:67] neg_lo:[1,0,0] neg_hi:[1,0,0]
	s_mov_b32 s72, s41
	s_mov_b32 s73, s47
	v_mov_b32_e32 v40, v42
	s_mov_b32 s40, s47
	v_pk_mul_f32 v[148:149], v[118:119], s[72:73]
	v_accvgpr_write_b32 a35, v43
	v_pk_add_f32 v[36:37], v[40:41], v[36:37]
	v_pk_fma_f32 v[42:43], v[104:105], s[40:41], v[148:149]
	v_pk_fma_f32 v[40:41], v[104:105], s[40:41], v[148:149] neg_lo:[1,0,0] neg_hi:[1,0,0]
	v_pk_mul_f32 v[152:153], v[116:117], s[62:63]
	v_mov_b32_e32 v40, v42
	v_accvgpr_write_b32 a37, v43
	v_pk_add_f32 v[36:37], v[40:41], v[36:37]
	v_pk_fma_f32 v[42:43], v[106:107], s[16:17], v[152:153]
	v_pk_fma_f32 v[40:41], v[106:107], s[16:17], v[152:153] neg_lo:[1,0,0] neg_hi:[1,0,0]
	v_pk_mul_f32 v[156:157], v[114:115], s[52:53]
	v_mov_b32_e32 v40, v42
	s_mov_b32 s43, 0x3eb8f4ab
	v_accvgpr_write_b32 a39, v43
	v_pk_add_f32 v[36:37], v[40:41], v[36:37]
	v_pk_fma_f32 v[42:43], v[108:109], s[26:27], v[156:157]
	v_pk_fma_f32 v[40:41], v[108:109], s[26:27], v[156:157] neg_lo:[1,0,0] neg_hi:[1,0,0]
	s_mov_b32 s68, s43
	s_mov_b32 s69, s51
	v_mov_b32_e32 v40, v42
	s_mov_b32 s42, s51
	v_pk_mul_f32 v[160:161], v[112:113], s[68:69]
	v_accvgpr_write_b32 a41, v43
	v_pk_add_f32 v[36:37], v[40:41], v[36:37]
	v_pk_fma_f32 v[42:43], v[110:111], s[42:43], v[160:161]
	v_pk_fma_f32 v[40:41], v[110:111], s[42:43], v[160:161] neg_lo:[1,0,0] neg_hi:[1,0,0]
	s_mov_b32 s56, s29
	v_mov_b32_e32 v40, v42
	v_pk_add_f32 v[36:37], v[40:41], v[36:37]
	s_mov_b32 s48, s53
	v_pk_mul_f32 v[40:41], v[128:129], s[56:57] op_sel_hi:[1,0]
	v_accvgpr_write_b32 a43, v43
	v_pk_fma_f32 v[42:43], v[126:127], s[48:49], v[40:41] op_sel:[0,0,1] op_sel_hi:[1,0,0]
	v_pk_fma_f32 v[164:165], v[126:127], s[48:49], v[40:41] op_sel:[0,0,1] op_sel_hi:[1,0,0] neg_lo:[0,0,1] neg_hi:[0,0,1]
	v_pk_mul_f32 v[168:169], v[124:125], s[38:39]
	s_mov_b32 s57, 0x3e3c28d5
	v_accvgpr_write_b32 a23, v47
	v_mov_b32_e32 v40, v42
	v_mov_b32_e32 v133, v43
	;; [unrolled: 1-line block ×3, first 2 shown]
	v_pk_fma_f32 v[46:47], v[98:99], s[0:1], v[168:169]
	v_pk_fma_f32 v[42:43], v[98:99], s[0:1], v[168:169] neg_lo:[1,0,0] neg_hi:[1,0,0]
	s_mov_b32 s58, s57
	s_mov_b32 s59, s55
	v_pk_add_f32 v[40:41], v[44:45], v[40:41]
	v_mov_b32_e32 v42, v46
	s_mov_b32 s56, s55
	v_pk_mul_f32 v[172:173], v[122:123], s[58:59]
	v_accvgpr_write_b32 a45, v47
	v_pk_add_f32 v[40:41], v[42:43], v[40:41]
	v_pk_fma_f32 v[46:47], v[100:101], s[56:57], v[172:173]
	v_pk_fma_f32 v[42:43], v[100:101], s[56:57], v[172:173] neg_lo:[1,0,0] neg_hi:[1,0,0]
	v_pk_mul_f32 v[176:177], v[120:121], s[62:63]
	v_mov_b32_e32 v42, v46
	s_mov_b32 s59, 0x3f2c7751
	v_accvgpr_write_b32 a47, v47
	v_pk_add_f32 v[40:41], v[42:43], v[40:41]
	v_pk_fma_f32 v[46:47], v[102:103], s[16:17], v[176:177]
	v_pk_fma_f32 v[42:43], v[102:103], s[16:17], v[176:177] neg_lo:[1,0,0] neg_hi:[1,0,0]
	s_mov_b32 s48, s59
	v_mov_b32_e32 v42, v46
	s_mov_b32 s58, s49
	v_pk_mul_f32 v[180:181], v[118:119], s[48:49]
	v_pk_add_f32 v[40:41], v[42:43], v[40:41]
	v_pk_fma_f32 v[170:171], v[104:105], s[58:59], v[180:181]
	v_pk_fma_f32 v[42:43], v[104:105], s[58:59], v[180:181] neg_lo:[1,0,0] neg_hi:[1,0,0]
	v_mov_b32_e32 v39, v185
	v_mov_b32_e32 v42, v170
	;; [unrolled: 1-line block ×3, first 2 shown]
	v_pk_mul_f32 v[184:185], v[116:117], s[50:51]
	v_pk_add_f32 v[40:41], v[42:43], v[40:41]
	v_pk_fma_f32 v[166:167], v[106:107], s[24:25], v[184:185]
	v_pk_fma_f32 v[42:43], v[106:107], s[24:25], v[184:185] neg_lo:[1,0,0] neg_hi:[1,0,0]
	v_pk_mul_f32 v[190:191], v[114:115], s[66:67]
	v_mov_b32_e32 v42, v166
	v_pk_add_f32 v[40:41], v[42:43], v[40:41]
	v_pk_fma_f32 v[130:131], v[108:109], s[30:31], v[190:191]
	v_pk_fma_f32 v[42:43], v[108:109], s[30:31], v[190:191] neg_lo:[1,0,0] neg_hi:[1,0,0]
	v_pk_mul_f32 v[196:197], v[112:113], s[46:47]
	v_mov_b32_e32 v42, v130
	v_pk_add_f32 v[40:41], v[42:43], v[40:41]
	v_pk_fma_f32 v[78:79], v[110:111], s[6:7], v[196:197]
	v_pk_fma_f32 v[42:43], v[110:111], s[6:7], v[196:197] neg_lo:[1,0,0] neg_hi:[1,0,0]
	s_mov_b32 s74, s31
	v_mov_b32_e32 v42, v78
	v_pk_add_f32 v[40:41], v[42:43], v[40:41]
	ds_write2_b64 v71, v[36:37], v[40:41] offset0:2 offset1:3
	s_mov_b32 s64, s45
	v_pk_mul_f32 v[36:37], v[128:129], s[74:75] op_sel_hi:[1,0]
	v_pk_mul_f32 v[232:233], v[124:125], s[54:55]
	v_pk_fma_f32 v[226:227], v[126:127], s[64:65], v[36:37] op_sel:[0,0,1] op_sel_hi:[1,0,0]
	v_pk_fma_f32 v[228:229], v[126:127], s[64:65], v[36:37] op_sel:[0,0,1] op_sel_hi:[1,0,0] neg_lo:[0,0,1] neg_hi:[0,0,1]
	v_mov_b32_e32 v36, v226
	v_mov_b32_e32 v37, v229
	v_pk_fma_f32 v[230:231], v[98:99], s[18:19], v[232:233]
	v_pk_fma_f32 v[40:41], v[98:99], s[18:19], v[232:233] neg_lo:[1,0,0] neg_hi:[1,0,0]
	v_pk_add_f32 v[36:37], v[44:45], v[36:37]
	v_mov_b32_e32 v40, v230
	v_pk_mul_f32 v[236:237], v[122:123], s[62:63]
	v_pk_add_f32 v[36:37], v[40:41], v[36:37]
	v_pk_fma_f32 v[234:235], v[100:101], s[16:17], v[236:237]
	v_pk_fma_f32 v[40:41], v[100:101], s[16:17], v[236:237] neg_lo:[1,0,0] neg_hi:[1,0,0]
	v_pk_mul_f32 v[240:241], v[120:121], s[68:69]
	v_mov_b32_e32 v40, v234
	v_pk_add_f32 v[36:37], v[40:41], v[36:37]
	v_pk_fma_f32 v[238:239], v[102:103], s[42:43], v[240:241]
	v_pk_fma_f32 v[40:41], v[102:103], s[42:43], v[240:241] neg_lo:[1,0,0] neg_hi:[1,0,0]
	v_pk_mul_f32 v[244:245], v[118:119], s[70:71]
	v_mov_b32_e32 v40, v238
	;; [unrolled: 5-line block ×3, first 2 shown]
	s_mov_b32 s65, 0x3f4c4adb
	v_pk_add_f32 v[36:37], v[40:41], v[36:37]
	v_pk_fma_f32 v[246:247], v[106:107], s[6:7], v[248:249]
	v_pk_fma_f32 v[40:41], v[106:107], s[6:7], v[248:249] neg_lo:[1,0,0] neg_hi:[1,0,0]
	s_mov_b32 s74, s65
	s_mov_b32 s75, s39
	v_mov_b32_e32 v40, v246
	s_mov_b32 s64, s39
	v_pk_mul_f32 v[252:253], v[114:115], s[74:75]
	v_pk_add_f32 v[36:37], v[40:41], v[36:37]
	v_pk_fma_f32 v[250:251], v[108:109], s[64:65], v[252:253]
	v_pk_fma_f32 v[40:41], v[108:109], s[64:65], v[252:253] neg_lo:[1,0,0] neg_hi:[1,0,0]
	v_pk_mul_f32 v[72:73], v[112:113], s[48:49]
	v_mov_b32_e32 v40, v250
	v_pk_add_f32 v[36:37], v[40:41], v[36:37]
	v_pk_fma_f32 v[64:65], v[110:111], s[58:59], v[72:73]
	v_pk_fma_f32 v[40:41], v[110:111], s[58:59], v[72:73] neg_lo:[1,0,0] neg_hi:[1,0,0]
	s_mov_b32 s76, s35
	v_mov_b32_e32 v40, v64
	v_pk_add_f32 v[134:135], v[40:41], v[36:37]
	s_mov_b32 s62, s63
	v_pk_mul_f32 v[36:37], v[128:129], s[76:77] op_sel_hi:[1,0]
	v_accvgpr_write_b32 a49, v47
	v_pk_fma_f32 v[62:63], v[126:127], s[62:63], v[36:37] op_sel:[0,0,1] op_sel_hi:[1,0,0]
	v_pk_fma_f32 v[36:37], v[126:127], s[62:63], v[36:37] op_sel:[0,0,1] op_sel_hi:[1,0,0] neg_lo:[0,0,1] neg_hi:[0,0,1]
	v_mov_b32_e32 v40, v62
	v_mov_b32_e32 v41, v37
	v_pk_add_f32 v[42:43], v[44:45], v[40:41]
	v_pk_mul_f32 v[40:41], v[124:125], s[72:73]
	v_pk_mul_f32 v[74:75], v[122:123], s[48:49]
	v_pk_fma_f32 v[60:61], v[98:99], s[40:41], v[40:41]
	v_pk_fma_f32 v[46:47], v[98:99], s[40:41], v[40:41] neg_lo:[1,0,0] neg_hi:[1,0,0]
	v_pk_fma_f32 v[58:59], v[100:101], s[58:59], v[74:75]
	v_mov_b32_e32 v46, v60
	v_pk_add_f32 v[42:43], v[46:47], v[42:43]
	v_pk_fma_f32 v[46:47], v[100:101], s[58:59], v[74:75] neg_lo:[1,0,0] neg_hi:[1,0,0]
	v_pk_mul_f32 v[138:139], v[120:121], s[70:71]
	v_mov_b32_e32 v46, v58
	v_pk_add_f32 v[42:43], v[46:47], v[42:43]
	v_pk_fma_f32 v[56:57], v[102:103], s[28:29], v[138:139]
	v_pk_fma_f32 v[46:47], v[102:103], s[28:29], v[138:139] neg_lo:[1,0,0] neg_hi:[1,0,0]
	v_pk_mul_f32 v[142:143], v[118:119], s[54:55]
	v_mov_b32_e32 v46, v56
	v_pk_add_f32 v[42:43], v[46:47], v[42:43]
	v_pk_fma_f32 v[54:55], v[104:105], s[18:19], v[142:143]
	v_pk_fma_f32 v[46:47], v[104:105], s[18:19], v[142:143] neg_lo:[1,0,0] neg_hi:[1,0,0]
	v_pk_mul_f32 v[146:147], v[116:117], s[44:45]
	v_mov_b32_e32 v46, v54
	v_accvgpr_write_b32 a26, v50
	v_pk_add_f32 v[42:43], v[46:47], v[42:43]
	v_pk_fma_f32 v[52:53], v[106:107], s[36:37], v[146:147]
	v_pk_fma_f32 v[46:47], v[106:107], s[36:37], v[146:147] neg_lo:[1,0,0] neg_hi:[1,0,0]
	v_pk_mul_f32 v[154:155], v[114:115], s[50:51]
	v_accvgpr_write_b32 a27, v51
	v_mov_b32_e32 v46, v52
	v_pk_fma_f32 v[50:51], v[108:109], s[24:25], v[154:155]
	v_pk_fma_f32 v[254:255], v[108:109], s[24:25], v[154:155] neg_lo:[1,0,0] neg_hi:[1,0,0]
	v_pk_add_f32 v[42:43], v[46:47], v[42:43]
	v_mov_b32_e32 v254, v50
	v_pk_add_f32 v[162:163], v[254:255], v[42:43]
	v_pk_mul_f32 v[254:255], v[112:113], s[38:39]
	v_pk_mul_f32 v[178:179], v[98:99], s[16:17]
	v_pk_fma_f32 v[46:47], v[110:111], s[0:1], v[254:255]
	v_pk_fma_f32 v[42:43], v[110:111], s[0:1], v[254:255] neg_lo:[1,0,0] neg_hi:[1,0,0]
	v_pk_add_f32 v[188:189], v[188:189], v[182:183] neg_lo:[0,1] neg_hi:[0,1]
	v_mov_b32_e32 v42, v46
	v_pk_add_f32 v[42:43], v[42:43], v[162:163]
	v_pk_mul_f32 v[136:137], v[100:101], s[24:25]
	ds_write2_b64 v71, v[134:135], v[42:43] offset0:4 offset1:5
	v_pk_mul_f32 v[134:135], v[106:107], s[20:21]
	v_mov_b32_e32 v195, v189
	v_pk_add_f32 v[198:199], v[198:199], v[178:179] neg_lo:[0,1] neg_hi:[0,1]
	v_pk_mul_f32 v[162:163], v[102:103], s[6:7]
	v_pk_mul_f32 v[174:175], v[108:109], s[18:19]
	v_pk_add_f32 v[194:195], v[44:45], v[194:195]
	v_mov_b32_e32 v201, v199
	v_pk_add_f32 v[198:199], v[202:203], v[136:137] neg_lo:[0,1] neg_hi:[0,1]
	v_pk_add_f32 v[134:135], v[214:215], v[134:135] neg_lo:[0,1] neg_hi:[0,1]
	v_pk_mul_f32 v[42:43], v[104:105], s[36:37]
	v_pk_mul_f32 v[188:189], v[110:111], s[26:27]
	v_pk_add_f32 v[194:195], v[200:201], v[194:195]
	v_mov_b32_e32 v205, v199
	v_pk_add_f32 v[162:163], v[206:207], v[162:163] neg_lo:[0,1] neg_hi:[0,1]
	v_mov_b32_e32 v217, v135
	v_pk_add_f32 v[134:135], v[218:219], v[174:175] neg_lo:[0,1] neg_hi:[0,1]
	v_pk_add_f32 v[194:195], v[204:205], v[194:195]
	v_mov_b32_e32 v209, v163
	v_pk_add_f32 v[42:43], v[210:211], v[42:43] neg_lo:[0,1] neg_hi:[0,1]
	v_mov_b32_e32 v221, v135
	v_pk_add_f32 v[134:135], v[222:223], v[188:189] neg_lo:[0,1] neg_hi:[0,1]
	v_pk_add_f32 v[162:163], v[208:209], v[194:195]
	v_mov_b32_e32 v213, v43
	v_mov_b32_e32 v225, v135
	s_mov_b32 s62, s47
	v_pk_mul_f32 v[134:135], v[128:129], s[46:47] op_sel_hi:[1,0]
	v_pk_add_f32 v[42:43], v[212:213], v[162:163]
	v_pk_fma_f32 v[162:163], v[126:127], s[62:63], v[134:135] op_sel:[0,0,1] op_sel_hi:[1,0,0]
	v_pk_fma_f32 v[134:135], v[126:127], s[62:63], v[134:135] op_sel:[0,0,1] op_sel_hi:[1,0,0] neg_lo:[0,0,1] neg_hi:[0,0,1]
	v_pk_mul_f32 v[188:189], v[124:125], s[52:53]
	v_mov_b32_e32 v174, v162
	v_mov_b32_e32 v175, v135
	v_pk_fma_f32 v[194:195], v[98:99], s[26:27], v[188:189]
	v_pk_fma_f32 v[198:199], v[98:99], s[26:27], v[188:189] neg_lo:[1,0,0] neg_hi:[1,0,0]
	v_pk_add_f32 v[174:175], v[44:45], v[174:175]
	v_mov_b32_e32 v198, v194
	v_pk_add_f32 v[174:175], v[198:199], v[174:175]
	v_pk_mul_f32 v[198:199], v[122:123], s[66:67]
	v_pk_add_f32 v[42:43], v[216:217], v[42:43]
	v_pk_fma_f32 v[200:201], v[100:101], s[30:31], v[198:199]
	v_pk_fma_f32 v[202:203], v[100:101], s[30:31], v[198:199] neg_lo:[1,0,0] neg_hi:[1,0,0]
	v_pk_add_f32 v[42:43], v[220:221], v[42:43]
	v_mov_b32_e32 v202, v200
	v_pk_add_f32 v[174:175], v[202:203], v[174:175]
	v_pk_mul_f32 v[202:203], v[120:121], s[74:75]
	v_pk_add_f32 v[42:43], v[224:225], v[42:43]
	v_pk_fma_f32 v[204:205], v[102:103], s[64:65], v[202:203]
	v_pk_fma_f32 v[206:207], v[102:103], s[64:65], v[202:203] neg_lo:[1,0,0] neg_hi:[1,0,0]
	v_pk_mul_f32 v[124:125], v[124:125], s[68:69]
	v_mov_b32_e32 v206, v204
	v_pk_add_f32 v[174:175], v[206:207], v[174:175]
	v_pk_mul_f32 v[206:207], v[118:119], s[50:51]
	s_mov_b32 s50, s55
	v_pk_fma_f32 v[208:209], v[104:105], s[24:25], v[206:207]
	v_pk_fma_f32 v[210:211], v[104:105], s[24:25], v[206:207] neg_lo:[1,0,0] neg_hi:[1,0,0]
	v_pk_mul_f32 v[122:123], v[122:123], s[46:47]
	v_mov_b32_e32 v210, v208
	v_pk_add_f32 v[174:175], v[210:211], v[174:175]
	v_pk_mul_f32 v[210:211], v[116:117], s[54:55]
	v_pk_fma_f32 v[224:225], v[100:101], s[6:7], v[122:123] neg_lo:[1,0,0] neg_hi:[1,0,0]
	v_pk_fma_f32 v[212:213], v[106:107], s[18:19], v[210:211]
	v_pk_fma_f32 v[214:215], v[106:107], s[18:19], v[210:211] neg_lo:[1,0,0] neg_hi:[1,0,0]
	v_pk_mul_f32 v[120:121], v[120:121], s[48:49]
	v_mov_b32_e32 v214, v212
	v_pk_add_f32 v[174:175], v[214:215], v[174:175]
	v_pk_mul_f32 v[214:215], v[114:115], s[48:49]
	v_pk_fma_f32 v[178:179], v[102:103], s[58:59], v[120:121]
	v_pk_fma_f32 v[216:217], v[108:109], s[58:59], v[214:215]
	v_pk_fma_f32 v[218:219], v[108:109], s[58:59], v[214:215] neg_lo:[1,0,0] neg_hi:[1,0,0]
	v_pk_mul_f32 v[118:119], v[118:119], s[38:39]
	v_mov_b32_e32 v218, v216
	v_pk_add_f32 v[174:175], v[218:219], v[174:175]
	v_pk_mul_f32 v[218:219], v[112:113], s[60:61]
	v_pk_fma_f32 v[182:183], v[104:105], s[0:1], v[118:119]
	v_pk_fma_f32 v[220:221], v[110:111], s[34:35], v[218:219]
	v_pk_fma_f32 v[222:223], v[110:111], s[34:35], v[218:219] neg_lo:[1,0,0] neg_hi:[1,0,0]
	v_pk_mul_f32 v[116:117], v[116:117], s[52:53]
	v_mov_b32_e32 v222, v220
	v_pk_add_f32 v[174:175], v[222:223], v[174:175]
	ds_write2_b64 v71, v[42:43], v[174:175] offset0:6 offset1:7
	v_pk_mul_f32 v[42:43], v[128:129], s[54:55] op_sel_hi:[1,0]
	v_pk_fma_f32 v[174:175], v[98:99], s[42:43], v[124:125]
	v_pk_fma_f32 v[128:129], v[126:127], s[50:51], v[42:43] op_sel:[0,0,1] op_sel_hi:[1,0,0]
	v_pk_fma_f32 v[42:43], v[126:127], s[50:51], v[42:43] op_sel:[0,0,1] op_sel_hi:[1,0,0] neg_lo:[0,0,1] neg_hi:[0,0,1]
	v_mov_b32_e32 v126, v128
	v_mov_b32_e32 v127, v43
	v_pk_fma_f32 v[222:223], v[98:99], s[42:43], v[124:125] neg_lo:[1,0,0] neg_hi:[1,0,0]
	v_pk_add_f32 v[126:127], v[44:45], v[126:127]
	v_mov_b32_e32 v222, v174
	v_pk_add_f32 v[126:127], v[222:223], v[126:127]
	v_pk_fma_f32 v[222:223], v[100:101], s[6:7], v[122:123]
	v_mov_b32_e32 v43, v129
	v_mov_b32_e32 v224, v222
	v_pk_add_f32 v[126:127], v[224:225], v[126:127]
	v_pk_fma_f32 v[224:225], v[102:103], s[58:59], v[120:121] neg_lo:[1,0,0] neg_hi:[1,0,0]
	v_pk_fma_f32 v[124:125], v[98:99], s[42:43], v[124:125] neg_lo:[0,0,1] neg_hi:[0,0,1]
	v_mov_b32_e32 v224, v178
	v_pk_add_f32 v[126:127], v[224:225], v[126:127]
	v_pk_fma_f32 v[224:225], v[104:105], s[0:1], v[118:119] neg_lo:[1,0,0] neg_hi:[1,0,0]
	v_mov_b32_e32 v125, v175
	v_mov_b32_e32 v224, v182
	v_pk_add_f32 v[42:43], v[44:45], v[42:43]
	v_pk_fma_f32 v[122:123], v[100:101], s[6:7], v[122:123] neg_lo:[0,0,1] neg_hi:[0,0,1]
	v_pk_add_f32 v[126:127], v[224:225], v[126:127]
	v_pk_fma_f32 v[186:187], v[106:107], s[26:27], v[116:117]
	v_pk_fma_f32 v[224:225], v[106:107], s[26:27], v[116:117] neg_lo:[1,0,0] neg_hi:[1,0,0]
	v_pk_add_f32 v[42:43], v[124:125], v[42:43]
	v_mov_b32_e32 v123, v223
	v_pk_fma_f32 v[120:121], v[102:103], s[58:59], v[120:121] neg_lo:[0,0,1] neg_hi:[0,0,1]
	v_mov_b32_e32 v224, v186
	v_pk_mul_f32 v[114:115], v[114:115], s[60:61]
	v_pk_add_f32 v[42:43], v[122:123], v[42:43]
	v_mov_b32_e32 v121, v179
	v_pk_fma_f32 v[118:119], v[104:105], s[0:1], v[118:119] neg_lo:[0,0,1] neg_hi:[0,0,1]
	v_pk_add_f32 v[126:127], v[224:225], v[126:127]
	v_pk_fma_f32 v[192:193], v[108:109], s[34:35], v[114:115]
	v_pk_fma_f32 v[224:225], v[108:109], s[34:35], v[114:115] neg_lo:[1,0,0] neg_hi:[1,0,0]
	v_pk_add_f32 v[42:43], v[120:121], v[42:43]
	v_mov_b32_e32 v119, v183
	v_pk_fma_f32 v[116:117], v[106:107], s[26:27], v[116:117] neg_lo:[0,0,1] neg_hi:[0,0,1]
	v_mov_b32_e32 v224, v192
	v_pk_mul_f32 v[112:113], v[112:113], s[44:45]
	v_pk_add_f32 v[42:43], v[118:119], v[42:43]
	v_mov_b32_e32 v117, v187
	v_pk_fma_f32 v[114:115], v[108:109], s[34:35], v[114:115] neg_lo:[0,0,1] neg_hi:[0,0,1]
	v_pk_add_f32 v[126:127], v[224:225], v[126:127]
	v_pk_fma_f32 v[136:137], v[110:111], s[36:37], v[112:113]
	v_pk_fma_f32 v[224:225], v[110:111], s[36:37], v[112:113] neg_lo:[1,0,0] neg_hi:[1,0,0]
	v_pk_add_f32 v[42:43], v[116:117], v[42:43]
	v_mov_b32_e32 v115, v193
	v_pk_fma_f32 v[112:113], v[110:111], s[36:37], v[112:113] neg_lo:[0,0,1] neg_hi:[0,0,1]
	v_mov_b32_e32 v224, v136
	v_pk_add_f32 v[42:43], v[114:115], v[42:43]
	v_mov_b32_e32 v113, v137
	v_pk_add_f32 v[126:127], v[224:225], v[126:127]
	v_pk_add_f32 v[42:43], v[112:113], v[42:43]
	v_mov_b32_e32 v135, v163
	v_pk_fma_f32 v[112:113], v[98:99], s[26:27], v[188:189] neg_lo:[0,0,1] neg_hi:[0,0,1]
	ds_write2_b64 v71, v[126:127], v[42:43] offset0:8 offset1:9
	v_pk_add_f32 v[42:43], v[44:45], v[134:135]
	v_mov_b32_e32 v113, v195
	v_pk_add_f32 v[42:43], v[112:113], v[42:43]
	v_pk_fma_f32 v[112:113], v[100:101], s[30:31], v[198:199] neg_lo:[0,0,1] neg_hi:[0,0,1]
	v_mov_b32_e32 v37, v63
	v_pk_fma_f32 v[40:41], v[98:99], s[40:41], v[40:41] neg_lo:[0,0,1] neg_hi:[0,0,1]
	v_mov_b32_e32 v113, v201
	v_pk_add_f32 v[36:37], v[44:45], v[36:37]
	v_mov_b32_e32 v41, v61
	v_pk_add_f32 v[42:43], v[112:113], v[42:43]
	v_pk_fma_f32 v[112:113], v[102:103], s[64:65], v[202:203] neg_lo:[0,0,1] neg_hi:[0,0,1]
	v_pk_add_f32 v[36:37], v[40:41], v[36:37]
	v_pk_fma_f32 v[40:41], v[100:101], s[58:59], v[74:75] neg_lo:[0,0,1] neg_hi:[0,0,1]
	v_mov_b32_e32 v113, v205
	v_mov_b32_e32 v41, v59
	v_pk_add_f32 v[42:43], v[112:113], v[42:43]
	v_pk_fma_f32 v[112:113], v[104:105], s[24:25], v[206:207] neg_lo:[0,0,1] neg_hi:[0,0,1]
	v_pk_add_f32 v[36:37], v[40:41], v[36:37]
	v_pk_fma_f32 v[40:41], v[102:103], s[28:29], v[138:139] neg_lo:[0,0,1] neg_hi:[0,0,1]
	v_mov_b32_e32 v113, v209
	;; [unrolled: 6-line block ×5, first 2 shown]
	v_mov_b32_e32 v41, v51
	v_pk_add_f32 v[42:43], v[112:113], v[42:43]
	v_pk_add_f32 v[36:37], v[40:41], v[36:37]
	v_pk_fma_f32 v[40:41], v[110:111], s[0:1], v[254:255] neg_lo:[0,0,1] neg_hi:[0,0,1]
	ds_write2_b64 v71, v[42:43], v[48:49] offset0:10 offset1:11
	v_mov_b32_e32 v41, v47
	v_mov_b32_e32 v229, v227
	v_pk_fma_f32 v[42:43], v[98:99], s[18:19], v[232:233] neg_lo:[0,0,1] neg_hi:[0,0,1]
	v_pk_add_f32 v[36:37], v[40:41], v[36:37]
	v_pk_add_f32 v[40:41], v[44:45], v[228:229]
	v_mov_b32_e32 v43, v231
	v_pk_add_f32 v[40:41], v[42:43], v[40:41]
	v_pk_fma_f32 v[42:43], v[100:101], s[16:17], v[236:237] neg_lo:[0,0,1] neg_hi:[0,0,1]
	v_mov_b32_e32 v165, v133
	v_mov_b32_e32 v43, v235
	v_pk_add_f32 v[40:41], v[42:43], v[40:41]
	v_pk_fma_f32 v[42:43], v[102:103], s[42:43], v[240:241] neg_lo:[0,0,1] neg_hi:[0,0,1]
	v_accvgpr_read_b32 v133, a29
	v_mov_b32_e32 v43, v239
	v_pk_add_f32 v[40:41], v[42:43], v[40:41]
	v_pk_fma_f32 v[42:43], v[104:105], s[28:29], v[244:245] neg_lo:[0,0,1] neg_hi:[0,0,1]
	s_nop 0
	v_mov_b32_e32 v43, v243
	v_pk_add_f32 v[40:41], v[42:43], v[40:41]
	v_pk_fma_f32 v[42:43], v[106:107], s[6:7], v[248:249] neg_lo:[0,0,1] neg_hi:[0,0,1]
	s_nop 0
	;; [unrolled: 4-line block ×4, first 2 shown]
	v_mov_b32_e32 v43, v65
	v_pk_add_f32 v[40:41], v[42:43], v[40:41]
	ds_write2_b64 v71, v[36:37], v[40:41] offset0:12 offset1:13
	v_pk_fma_f32 v[40:41], v[98:99], s[0:1], v[168:169] neg_lo:[0,0,1] neg_hi:[0,0,1]
	v_pk_add_f32 v[36:37], v[44:45], v[164:165]
	v_accvgpr_read_b32 v41, a45
	v_pk_add_f32 v[36:37], v[40:41], v[36:37]
	v_pk_fma_f32 v[40:41], v[100:101], s[56:57], v[172:173] neg_lo:[0,0,1] neg_hi:[0,0,1]
	v_pk_fma_f32 v[42:43], v[98:99], s[30:31], v[68:69] neg_lo:[0,0,1] neg_hi:[0,0,1]
	v_accvgpr_read_b32 v41, a47
	v_pk_add_f32 v[36:37], v[40:41], v[36:37]
	v_pk_fma_f32 v[40:41], v[102:103], s[16:17], v[176:177] neg_lo:[0,0,1] neg_hi:[0,0,1]
	v_accvgpr_read_b32 v43, a31
	v_accvgpr_read_b32 v41, a49
	v_pk_add_f32 v[36:37], v[40:41], v[36:37]
	v_pk_fma_f32 v[40:41], v[104:105], s[58:59], v[180:181] neg_lo:[0,0,1] neg_hi:[0,0,1]
	s_nop 0
	v_mov_b32_e32 v41, v171
	v_pk_add_f32 v[36:37], v[40:41], v[36:37]
	v_pk_fma_f32 v[40:41], v[106:107], s[24:25], v[184:185] neg_lo:[0,0,1] neg_hi:[0,0,1]
	v_mov_b32_e32 v185, v39
	v_mov_b32_e32 v41, v167
	v_pk_add_f32 v[36:37], v[40:41], v[36:37]
	v_pk_fma_f32 v[40:41], v[108:109], s[30:31], v[190:191] neg_lo:[0,0,1] neg_hi:[0,0,1]
	v_mov_b32_e32 v39, v145
	;; [unrolled: 4-line block ×3, first 2 shown]
	v_mov_b32_e32 v41, v79
	v_pk_add_f32 v[36:37], v[40:41], v[36:37]
	v_pk_add_f32 v[40:41], v[44:45], v[132:133]
	s_nop 0
	v_pk_add_f32 v[40:41], v[42:43], v[40:41]
	v_pk_fma_f32 v[42:43], v[100:101], s[0:1], v[140:141] neg_lo:[0,0,1] neg_hi:[0,0,1]
	s_nop 0
	v_accvgpr_read_b32 v43, a33
	v_pk_add_f32 v[40:41], v[42:43], v[40:41]
	v_pk_fma_f32 v[42:43], v[102:103], s[18:19], v[66:67] neg_lo:[0,0,1] neg_hi:[0,0,1]
	s_nop 0
	v_accvgpr_read_b32 v43, a35
	v_pk_add_f32 v[40:41], v[42:43], v[40:41]
	v_pk_fma_f32 v[42:43], v[104:105], s[40:41], v[148:149] neg_lo:[0,0,1] neg_hi:[0,0,1]
	s_nop 0
	v_accvgpr_read_b32 v43, a37
	v_pk_add_f32 v[40:41], v[42:43], v[40:41]
	v_pk_fma_f32 v[42:43], v[106:107], s[16:17], v[152:153] neg_lo:[0,0,1] neg_hi:[0,0,1]
	s_nop 0
	v_accvgpr_read_b32 v43, a39
	v_pk_add_f32 v[40:41], v[42:43], v[40:41]
	v_pk_fma_f32 v[42:43], v[108:109], s[26:27], v[156:157] neg_lo:[0,0,1] neg_hi:[0,0,1]
	s_nop 0
	v_accvgpr_read_b32 v43, a41
	v_pk_add_f32 v[40:41], v[42:43], v[40:41]
	v_pk_fma_f32 v[42:43], v[110:111], s[42:43], v[160:161] neg_lo:[0,0,1] neg_hi:[0,0,1]
	s_nop 0
	v_accvgpr_read_b32 v43, a43
	v_pk_add_f32 v[40:41], v[42:43], v[40:41]
	ds_write2_b64 v71, v[36:37], v[40:41] offset0:14 offset1:15
	v_pk_add_f32 v[36:37], v[44:45], v[38:39]
	v_accvgpr_read_b32 v39, a3
	v_accvgpr_read_b32 v38, a2
	v_pk_fma_f32 v[38:39], v[98:99], s[20:21], v[38:39] neg_lo:[0,0,1] neg_hi:[0,0,1]
	s_nop 0
	v_accvgpr_read_b32 v39, a1
	v_pk_add_f32 v[36:37], v[38:39], v[36:37]
	v_accvgpr_read_b32 v39, a7
	v_accvgpr_read_b32 v38, a6
	v_pk_fma_f32 v[38:39], v[100:101], s[28:29], v[38:39] neg_lo:[0,0,1] neg_hi:[0,0,1]
	s_nop 0
	v_accvgpr_read_b32 v39, a5
	;; [unrolled: 6-line block ×7, first 2 shown]
	v_pk_add_f32 v[36:37], v[38:39], v[36:37]
	ds_write_b64 v71, v[36:37] offset:128
.LBB0_17:
	s_or_b64 exec, exec, s[22:23]
	s_waitcnt lgkmcnt(0)
	s_barrier
	ds_read2_b64 v[36:39], v150 offset1:102
	v_mov_b32_e32 v40, v30
	v_mov_b32_e32 v41, v30
	v_add_u32_e32 v30, 0x400, v150
	ds_read2_b64 v[52:55], v30 offset0:76 offset1:178
	v_mov_b32_e32 v30, v21
	s_waitcnt lgkmcnt(1)
	v_pk_mul_f32 v[56:57], v[20:21], v[38:39] op_sel:[0,1] op_sel_hi:[1,0]
	v_pk_mul_f32 v[46:47], v[30:31], v[38:39] op_sel:[0,1] op_sel_hi:[1,0]
	v_mov_b32_e32 v30, v57
	v_pk_fma_f32 v[46:47], v[20:21], v[38:39], v[46:47]
	v_pk_fma_f32 v[68:69], v[20:21], v[38:39], v[30:31] op_sel:[0,1,0] op_sel_hi:[1,0,1] neg_lo:[0,0,1] neg_hi:[0,0,1]
	v_add_u32_e32 v20, 0x800, v150
	ds_read2_b64 v[56:59], v20 offset0:152 offset1:254
	v_add_u32_e32 v20, 0x1000, v150
	ds_read2_b64 v[60:63], v20 offset0:100 offset1:202
	;; [unrolled: 2-line block ×3, first 2 shown]
	ds_read_b64 v[20:21], v150 offset:8160
	s_waitcnt lgkmcnt(4)
	v_pk_mul_f32 v[22:23], v[22:23], v[52:53]
	s_waitcnt lgkmcnt(3)
	v_pk_mul_f32 v[14:15], v[14:15], v[56:57]
	v_pk_mul_f32 v[8:9], v[8:9], v[58:59]
	s_waitcnt lgkmcnt(2)
	v_pk_mul_f32 v[10:11], v[10:11], v[60:61]
	;; [unrolled: 3-line block ×4, first 2 shown]
	v_pk_fma_f32 v[72:73], v[96:97], v[52:53], v[22:23] op_sel:[0,0,1] op_sel_hi:[1,1,0]
	v_pk_fma_f32 v[74:75], v[96:97], v[52:53], v[22:23] op_sel:[0,0,1] op_sel_hi:[1,1,0] neg_lo:[0,0,1] neg_hi:[0,0,1]
	v_pk_mul_f32 v[12:13], v[12:13], v[54:55]
	v_pk_fma_f32 v[78:79], v[92:93], v[56:57], v[14:15] op_sel:[0,0,1] op_sel_hi:[1,1,0]
	v_pk_fma_f32 v[14:15], v[92:93], v[56:57], v[14:15] op_sel:[0,0,1] op_sel_hi:[1,1,0] neg_lo:[0,0,1] neg_hi:[0,0,1]
	v_pk_fma_f32 v[56:57], v[90:91], v[58:59], v[8:9] op_sel:[0,0,1] op_sel_hi:[1,1,0]
	v_pk_fma_f32 v[58:59], v[90:91], v[58:59], v[8:9] op_sel:[0,0,1] op_sel_hi:[1,1,0] neg_lo:[0,0,1] neg_hi:[0,0,1]
	v_pk_fma_f32 v[90:91], v[88:89], v[60:61], v[10:11] op_sel:[0,0,1] op_sel_hi:[1,1,0]
	v_pk_fma_f32 v[60:61], v[88:89], v[60:61], v[10:11] op_sel:[0,0,1] op_sel_hi:[1,1,0] neg_lo:[0,0,1] neg_hi:[0,0,1]
	v_pk_fma_f32 v[88:89], v[86:87], v[62:63], v[4:5] op_sel:[0,0,1] op_sel_hi:[1,1,0]
	v_pk_fma_f32 v[4:5], v[86:87], v[62:63], v[4:5] op_sel:[0,0,1] op_sel_hi:[1,1,0] neg_lo:[0,0,1] neg_hi:[0,0,1]
	v_pk_fma_f32 v[86:87], v[84:85], v[64:65], v[6:7] op_sel:[0,0,1] op_sel_hi:[1,1,0]
	v_pk_fma_f32 v[6:7], v[84:85], v[64:65], v[6:7] op_sel:[0,0,1] op_sel_hi:[1,1,0] neg_lo:[0,0,1] neg_hi:[0,0,1]
	v_pk_fma_f32 v[84:85], v[82:83], v[66:67], v[0:1] op_sel:[0,0,1] op_sel_hi:[1,1,0]
	v_pk_fma_f32 v[0:1], v[82:83], v[66:67], v[0:1] op_sel:[0,0,1] op_sel_hi:[1,1,0] neg_lo:[0,0,1] neg_hi:[0,0,1]
	v_pk_fma_f32 v[82:83], v[80:81], v[20:21], v[2:3] op_sel:[0,0,1] op_sel_hi:[1,1,0]
	v_pk_fma_f32 v[2:3], v[80:81], v[20:21], v[2:3] op_sel:[0,0,1] op_sel_hi:[1,1,0] neg_lo:[0,0,1] neg_hi:[0,0,1]
	v_mov_b32_e32 v80, v46
	v_mov_b32_e32 v81, v68
	;; [unrolled: 1-line block ×4, first 2 shown]
	v_pk_fma_f32 v[38:39], v[94:95], v[54:55], v[12:13] op_sel:[0,0,1] op_sel_hi:[1,1,0]
	v_pk_fma_f32 v[12:13], v[94:95], v[54:55], v[12:13] op_sel:[0,0,1] op_sel_hi:[1,1,0] neg_lo:[0,0,1] neg_hi:[0,0,1]
	v_pk_add_f32 v[80:81], v[36:37], v[80:81]
	v_mov_b32_e32 v52, v38
	v_mov_b32_e32 v53, v13
	v_pk_add_f32 v[22:23], v[80:81], v[22:23]
	v_mov_b32_e32 v54, v78
	v_mov_b32_e32 v55, v15
	;; [unrolled: 3-line block ×8, first 2 shown]
	v_pk_add_f32 v[8:9], v[8:9], v[66:67]
	s_mov_b32 s6, 0x3f68dda4
	v_pk_add_f32 v[80:81], v[56:57], v[90:91]
	v_pk_add_f32 v[22:23], v[56:57], v[90:91] neg_lo:[0,1] neg_hi:[0,1]
	v_pk_add_f32 v[54:55], v[8:9], v[20:21]
	v_pk_add_f32 v[62:63], v[38:39], v[86:87]
	v_pk_add_f32 v[8:9], v[38:39], v[86:87] neg_lo:[0,1] neg_hi:[0,1]
	s_mov_b32 s0, 0xbf4178ce
	s_mov_b32 s7, 0x3ed4b147
	v_mov_b32_e32 v81, v22
	v_pk_add_f32 v[86:87], v[58:59], v[60:61] neg_lo:[0,1] neg_hi:[0,1]
	v_pk_add_f32 v[22:23], v[58:59], v[60:61]
	v_pk_add_f32 v[58:59], v[46:47], v[82:83]
	v_pk_add_f32 v[46:47], v[46:47], v[82:83] neg_lo:[0,1] neg_hi:[0,1]
	s_mov_b32 s20, 0xbf68dda4
	s_mov_b32 s1, 0xbf27a4f4
	v_pk_add_f32 v[66:67], v[78:79], v[88:89]
	v_pk_add_f32 v[20:21], v[78:79], v[88:89] neg_lo:[0,1] neg_hi:[0,1]
	v_mov_b32_e32 v59, v46
	v_pk_add_f32 v[60:61], v[68:69], v[2:3] op_sel:[0,1] neg_lo:[0,1] neg_hi:[0,1]
	v_pk_add_f32 v[52:53], v[68:69], v[2:3] op_sel_hi:[0,1]
	s_mov_b32 s38, s7
	s_mov_b32 s39, s20
	v_pk_add_f32 v[88:89], v[72:73], v[84:85]
	v_pk_add_f32 v[46:47], v[72:73], v[84:85] neg_lo:[0,1] neg_hi:[0,1]
	s_mov_b32 s16, 0xbe903f40
	s_mov_b32 s24, s1
	;; [unrolled: 1-line block ×3, first 2 shown]
	v_mov_b32_e32 v52, v60
	s_mov_b32 s21, s7
	v_pk_mul_f32 v[68:69], v[58:59], s[38:39]
	v_mov_b32_e32 v89, v46
	v_pk_add_f32 v[72:73], v[74:75], v[0:1] neg_lo:[0,1] neg_hi:[0,1]
	v_pk_add_f32 v[56:57], v[74:75], v[0:1]
	s_mov_b32 s17, 0xbf75a155
	s_mov_b32 s18, 0x3f0a6770
	v_pk_fma_f32 v[2:3], v[60:61], s[20:21], v[68:69] neg_lo:[1,0,0] neg_hi:[1,0,0]
	v_pk_fma_f32 v[82:83], v[52:53], s[20:21], v[68:69]
	v_mov_b32_e32 v56, v73
	v_pk_mul_f32 v[74:75], v[88:89], s[24:25]
	s_mov_b32 s36, s17
	s_mov_b32 s37, s16
	;; [unrolled: 1-line block ×3, first 2 shown]
	v_mov_b32_e32 v3, v83
	v_pk_fma_f32 v[0:1], v[72:73], s[0:1], v[74:75] op_sel:[1,0,0] neg_lo:[1,0,0] neg_hi:[1,0,0]
	v_pk_fma_f32 v[84:85], v[56:57], s[0:1], v[74:75]
	v_pk_mul_f32 v[90:91], v[58:59], s[36:37]
	s_mov_b32 s44, s19
	s_mov_b32 s45, s18
	v_mov_b32_e32 v63, v8
	v_pk_add_f32 v[64:65], v[12:13], v[6:7] neg_lo:[0,1] neg_hi:[0,1]
	v_pk_add_f32 v[10:11], v[12:13], v[6:7]
	v_mov_b32_e32 v1, v85
	v_pk_add_f32 v[2:3], v[36:37], v[2:3]
	v_pk_fma_f32 v[46:47], v[60:61], s[16:17], v[90:91] neg_lo:[1,0,0] neg_hi:[1,0,0]
	v_pk_fma_f32 v[92:93], v[52:53], s[16:17], v[90:91]
	v_pk_mul_f32 v[94:95], v[88:89], s[44:45]
	s_mov_b32 s30, 0x3e903f40
	s_mov_b32 s28, 0x3f7d64f0
	;; [unrolled: 1-line block ×3, first 2 shown]
	v_mov_b32_e32 v10, v65
	v_pk_mul_f32 v[12:13], v[62:63], s[24:25]
	v_mov_b32_e32 v67, v20
	v_pk_add_f32 v[78:79], v[14:15], v[4:5] neg_lo:[0,1] neg_hi:[0,1]
	v_pk_add_f32 v[20:21], v[14:15], v[4:5]
	s_mov_b32 s26, s7
	s_mov_b32 s27, s6
	v_mov_b32_e32 v47, v93
	v_pk_add_f32 v[0:1], v[0:1], v[2:3]
	v_pk_fma_f32 v[2:3], v[72:73], s[18:19], v[94:95] op_sel:[1,0,0] neg_lo:[1,0,0] neg_hi:[1,0,0]
	v_pk_fma_f32 v[96:97], v[56:57], s[18:19], v[94:95]
	s_mov_b32 s46, s17
	s_mov_b32 s47, s30
	s_mov_b32 s29, 0xbe11bafb
	s_mov_b32 s48, s19
	s_mov_b32 s49, s34
	v_pk_fma_f32 v[6:7], v[64:65], s[0:1], v[12:13] op_sel:[1,0,0] neg_lo:[1,0,0] neg_hi:[1,0,0]
	v_pk_fma_f32 v[8:9], v[10:11], s[0:1], v[12:13]
	v_mov_b32_e32 v20, v79
	v_pk_mul_f32 v[38:39], v[66:67], s[26:27]
	v_pk_add_f32 v[46:47], v[36:37], v[46:47]
	v_mov_b32_e32 v3, v97
	s_mov_b32 s31, s17
	v_pk_mul_f32 v[98:99], v[62:63], s[46:47]
	s_mov_b32 s42, s29
	s_mov_b32 s43, s28
	;; [unrolled: 1-line block ×4, first 2 shown]
	v_pk_mul_f32 v[118:119], v[58:59], s[48:49]
	v_mov_b32_e32 v7, v9
	v_pk_fma_f32 v[4:5], v[78:79], s[6:7], v[38:39] op_sel:[1,0,0] neg_lo:[1,0,0] neg_hi:[1,0,0]
	v_pk_fma_f32 v[14:15], v[20:21], s[6:7], v[38:39]
	v_pk_add_f32 v[2:3], v[2:3], v[46:47]
	v_pk_fma_f32 v[46:47], v[64:65], s[30:31], v[98:99] op_sel:[1,0,0] neg_lo:[1,0,0] neg_hi:[1,0,0]
	v_pk_fma_f32 v[100:101], v[10:11], s[30:31], v[98:99]
	v_pk_mul_f32 v[102:103], v[66:67], s[42:43]
	s_mov_b32 s40, s29
	s_mov_b32 s41, s22
	v_pk_fma_f32 v[120:121], v[60:61], s[34:35], v[118:119] neg_lo:[1,0,0] neg_hi:[1,0,0]
	v_pk_fma_f32 v[122:123], v[52:53], s[34:35], v[118:119]
	v_pk_mul_f32 v[124:125], v[88:89], s[38:39]
	v_mov_b32_e32 v5, v15
	v_mov_b32_e32 v47, v101
	v_pk_add_f32 v[2:3], v[6:7], v[2:3]
	v_pk_fma_f32 v[6:7], v[78:79], s[28:29], v[102:103] op_sel:[1,0,0] neg_lo:[1,0,0] neg_hi:[1,0,0]
	v_pk_fma_f32 v[104:105], v[20:21], s[28:29], v[102:103]
	s_mov_b32 s23, s29
	v_pk_mul_f32 v[106:107], v[62:63], s[40:41]
	v_mov_b32_e32 v121, v123
	v_pk_fma_f32 v[126:127], v[72:73], s[20:21], v[124:125] op_sel:[1,0,0] neg_lo:[1,0,0] neg_hi:[1,0,0]
	v_pk_fma_f32 v[128:129], v[56:57], s[20:21], v[124:125]
	v_pk_add_f32 v[0:1], v[46:47], v[0:1]
	v_mov_b32_e32 v7, v105
	v_pk_add_f32 v[4:5], v[4:5], v[2:3]
	v_pk_fma_f32 v[2:3], v[64:65], s[22:23], v[106:107] op_sel:[1,0,0] neg_lo:[1,0,0] neg_hi:[1,0,0]
	v_pk_fma_f32 v[108:109], v[10:11], s[22:23], v[106:107]
	v_pk_mul_f32 v[110:111], v[66:67], s[24:25]
	v_mov_b32_e32 v127, v129
	v_pk_add_f32 v[120:121], v[36:37], v[120:121]
	v_mov_b32_e32 v22, v87
	v_pk_add_f32 v[0:1], v[6:7], v[0:1]
	v_mov_b32_e32 v3, v109
	v_pk_fma_f32 v[6:7], v[78:79], s[0:1], v[110:111] op_sel:[1,0,0] neg_lo:[1,0,0] neg_hi:[1,0,0]
	v_pk_fma_f32 v[112:113], v[20:21], s[0:1], v[110:111]
	v_pk_mul_f32 v[114:115], v[80:81], s[36:37]
	v_pk_add_f32 v[120:121], v[126:127], v[120:121]
	v_mov_b32_e32 v7, v113
	v_pk_fma_f32 v[46:47], v[86:87], s[16:17], v[114:115] op_sel:[1,0,0] neg_lo:[1,0,0] neg_hi:[1,0,0]
	v_pk_fma_f32 v[116:117], v[22:23], s[16:17], v[114:115]
	v_pk_add_f32 v[2:3], v[2:3], v[120:121]
	v_mov_b32_e32 v47, v117
	v_pk_add_f32 v[2:3], v[6:7], v[2:3]
	v_pk_mul_f32 v[120:121], v[80:81], s[44:45]
	v_pk_mul_f32 v[138:139], v[58:59], s[40:41]
	v_pk_add_f32 v[46:47], v[46:47], v[2:3]
	v_pk_fma_f32 v[2:3], v[86:87], s[18:19], v[120:121] op_sel:[1,0,0] neg_lo:[1,0,0] neg_hi:[1,0,0]
	v_pk_fma_f32 v[126:127], v[22:23], s[18:19], v[120:121]
	v_pk_fma_f32 v[140:141], v[60:61], s[22:23], v[138:139] neg_lo:[1,0,0] neg_hi:[1,0,0]
	v_pk_fma_f32 v[142:143], v[52:53], s[22:23], v[138:139]
	v_pk_mul_f32 v[146:147], v[88:89], s[46:47]
	v_mov_b32_e32 v3, v127
	v_pk_mul_f32 v[130:131], v[62:63], s[26:27]
	v_mov_b32_e32 v141, v143
	v_pk_fma_f32 v[148:149], v[72:73], s[30:31], v[146:147] op_sel:[1,0,0] neg_lo:[1,0,0] neg_hi:[1,0,0]
	v_pk_fma_f32 v[152:153], v[56:57], s[30:31], v[146:147]
	v_pk_add_f32 v[2:3], v[2:3], v[0:1]
	v_pk_fma_f32 v[0:1], v[64:65], s[6:7], v[130:131] op_sel:[1,0,0] neg_lo:[1,0,0] neg_hi:[1,0,0]
	v_pk_fma_f32 v[132:133], v[10:11], s[6:7], v[130:131]
	v_pk_mul_f32 v[134:135], v[66:67], s[48:49]
	v_mov_b32_e32 v149, v153
	v_pk_add_f32 v[140:141], v[36:37], v[140:141]
	v_mov_b32_e32 v1, v133
	v_pk_fma_f32 v[6:7], v[78:79], s[34:35], v[134:135] op_sel:[1,0,0] neg_lo:[1,0,0] neg_hi:[1,0,0]
	v_pk_fma_f32 v[136:137], v[20:21], s[34:35], v[134:135]
	v_pk_add_f32 v[140:141], v[148:149], v[140:141]
	v_mov_b32_e32 v7, v137
	v_pk_add_f32 v[0:1], v[0:1], v[140:141]
	v_pk_mul_f32 v[140:141], v[80:81], s[24:25]
	v_pk_mul_f32 v[58:59], v[58:59], s[24:25]
	v_pk_add_f32 v[0:1], v[6:7], v[0:1]
	v_pk_fma_f32 v[6:7], v[86:87], s[0:1], v[140:141] op_sel:[1,0,0] neg_lo:[1,0,0] neg_hi:[1,0,0]
	v_pk_fma_f32 v[148:149], v[22:23], s[0:1], v[140:141]
	v_pk_fma_f32 v[60:61], v[60:61], s[0:1], v[58:59] neg_lo:[1,0,0] neg_hi:[1,0,0]
	v_pk_fma_f32 v[156:157], v[52:53], s[0:1], v[58:59]
	v_pk_mul_f32 v[88:89], v[88:89], s[42:43]
	v_mov_b32_e32 v7, v149
	v_pk_mul_f32 v[62:63], v[62:63], s[48:49]
	v_mov_b32_e32 v61, v157
	v_pk_fma_f32 v[72:73], v[72:73], s[28:29], v[88:89] op_sel:[1,0,0] neg_lo:[1,0,0] neg_hi:[1,0,0]
	v_pk_fma_f32 v[160:161], v[56:57], s[28:29], v[88:89]
	v_pk_add_f32 v[0:1], v[6:7], v[0:1]
	v_pk_fma_f32 v[6:7], v[64:65], s[34:35], v[62:63] op_sel:[1,0,0] neg_lo:[1,0,0] neg_hi:[1,0,0]
	v_pk_fma_f32 v[64:65], v[10:11], s[34:35], v[62:63]
	v_pk_mul_f32 v[66:67], v[66:67], s[36:37]
	v_mov_b32_e32 v73, v161
	v_pk_add_f32 v[60:61], v[36:37], v[60:61]
	v_mov_b32_e32 v7, v65
	v_pk_fma_f32 v[78:79], v[78:79], s[16:17], v[66:67] op_sel:[1,0,0] neg_lo:[1,0,0] neg_hi:[1,0,0]
	v_pk_fma_f32 v[154:155], v[20:21], s[16:17], v[66:67]
	v_pk_add_f32 v[60:61], v[72:73], v[60:61]
	v_mov_b32_e32 v79, v155
	v_pk_add_f32 v[6:7], v[6:7], v[60:61]
	v_pk_mul_f32 v[60:61], v[80:81], s[26:27]
	v_pk_add_f32 v[6:7], v[78:79], v[6:7]
	v_pk_fma_f32 v[72:73], v[86:87], s[6:7], v[60:61] op_sel:[1,0,0] neg_lo:[1,0,0] neg_hi:[1,0,0]
	v_pk_fma_f32 v[78:79], v[22:23], s[6:7], v[60:61]
	s_nop 0
	v_mov_b32_e32 v73, v79
	v_pk_add_f32 v[6:7], v[72:73], v[6:7]
	v_pk_mul_f32 v[72:73], v[80:81], s[40:41]
	s_barrier
	v_pk_fma_f32 v[80:81], v[86:87], s[22:23], v[72:73] op_sel:[1,0,0] neg_lo:[1,0,0] neg_hi:[1,0,0]
	v_pk_fma_f32 v[86:87], v[22:23], s[22:23], v[72:73]
	s_nop 0
	v_mov_b32_e32 v81, v87
	v_pk_add_f32 v[4:5], v[80:81], v[4:5]
	v_pk_fma_f32 v[80:81], v[10:11], s[22:23], v[106:107] neg_lo:[0,0,1] neg_hi:[0,0,1]
	v_mov_b32_e32 v50, v32
	v_mov_b32_e32 v109, v81
	v_pk_fma_f32 v[80:81], v[20:21], s[0:1], v[110:111] neg_lo:[0,0,1] neg_hi:[0,0,1]
	v_mov_b32_e32 v51, v32
	v_mov_b32_e32 v113, v81
	;; [unrolled: 3-line block ×5, first 2 shown]
	v_pk_add_f32 v[80:81], v[36:37], v[122:123]
	v_mov_b32_e32 v34, v35
	v_pk_add_f32 v[80:81], v[128:129], v[80:81]
	v_mov_b32_e32 v42, v28
	;; [unrolled: 2-line block ×4, first 2 shown]
	v_pk_add_f32 v[80:81], v[116:117], v[80:81]
	ds_write2_b64 v144, v[54:55], v[80:81] offset1:17
	v_pk_fma_f32 v[54:55], v[52:53], s[20:21], v[68:69] neg_lo:[0,0,1] neg_hi:[0,0,1]
	v_pk_fma_f32 v[68:69], v[10:11], s[30:31], v[98:99] neg_lo:[0,0,1] neg_hi:[0,0,1]
	v_mov_b32_e32 v83, v55
	v_mov_b32_e32 v101, v69
	v_pk_fma_f32 v[68:69], v[20:21], s[28:29], v[102:103] neg_lo:[0,0,1] neg_hi:[0,0,1]
	v_pk_fma_f32 v[54:55], v[56:57], s[0:1], v[74:75] neg_lo:[0,0,1] neg_hi:[0,0,1]
	v_mov_b32_e32 v105, v69
	v_pk_fma_f32 v[68:69], v[22:23], s[18:19], v[120:121] neg_lo:[0,0,1] neg_hi:[0,0,1]
	v_mov_b32_e32 v85, v55
	v_mov_b32_e32 v127, v69
	v_pk_fma_f32 v[68:69], v[10:11], s[6:7], v[130:131] neg_lo:[0,0,1] neg_hi:[0,0,1]
	v_pk_add_f32 v[54:55], v[36:37], v[82:83]
	v_mov_b32_e32 v133, v69
	v_pk_fma_f32 v[68:69], v[20:21], s[34:35], v[134:135] neg_lo:[0,0,1] neg_hi:[0,0,1]
	v_pk_add_f32 v[54:55], v[84:85], v[54:55]
	;; [unrolled: 3-line block ×3, first 2 shown]
	v_mov_b32_e32 v143, v69
	v_pk_fma_f32 v[68:69], v[56:57], s[30:31], v[146:147] neg_lo:[0,0,1] neg_hi:[0,0,1]
	v_pk_fma_f32 v[74:75], v[22:23], s[0:1], v[140:141] neg_lo:[0,0,1] neg_hi:[0,0,1]
	v_mov_b32_e32 v153, v69
	v_pk_add_f32 v[68:69], v[36:37], v[142:143]
	v_pk_add_f32 v[54:55], v[104:105], v[54:55]
	;; [unrolled: 1-line block ×3, first 2 shown]
	v_mov_b32_e32 v149, v75
	v_pk_add_f32 v[68:69], v[132:133], v[68:69]
	v_pk_add_f32 v[54:55], v[126:127], v[54:55]
	;; [unrolled: 1-line block ×3, first 2 shown]
	v_mov_b32_e32 v30, v31
	v_pk_add_f32 v[68:69], v[148:149], v[68:69]
	ds_write2_b64 v144, v[54:55], v[68:69] offset0:34 offset1:51
	v_pk_fma_f32 v[54:55], v[10:11], s[34:35], v[62:63] neg_lo:[0,0,1] neg_hi:[0,0,1]
	v_pk_fma_f32 v[10:11], v[10:11], s[0:1], v[12:13] neg_lo:[0,0,1] neg_hi:[0,0,1]
	v_mov_b32_e32 v65, v55
	v_pk_fma_f32 v[54:55], v[20:21], s[16:17], v[66:67] neg_lo:[0,0,1] neg_hi:[0,0,1]
	v_mov_b32_e32 v9, v11
	;; [unrolled: 2-line block ×7, first 2 shown]
	v_pk_add_f32 v[54:55], v[36:37], v[156:157]
	v_pk_add_f32 v[10:11], v[36:37], v[92:93]
	v_mov_b32_e32 v97, v13
	v_pk_add_f32 v[54:55], v[160:161], v[54:55]
	v_pk_add_f32 v[10:11], v[96:97], v[10:11]
	v_pk_add_f32 v[54:55], v[64:65], v[54:55]
	v_pk_fma_f32 v[58:59], v[22:23], s[6:7], v[60:61] neg_lo:[0,0,1] neg_hi:[0,0,1]
	v_pk_add_f32 v[8:9], v[8:9], v[10:11]
	v_pk_fma_f32 v[10:11], v[22:23], s[22:23], v[72:73] neg_lo:[0,0,1] neg_hi:[0,0,1]
	v_pk_add_f32 v[54:55], v[154:155], v[54:55]
	v_mov_b32_e32 v79, v59
	v_pk_add_f32 v[8:9], v[14:15], v[8:9]
	v_mov_b32_e32 v87, v11
	v_pk_add_f32 v[54:55], v[78:79], v[54:55]
	v_pk_add_f32 v[8:9], v[86:87], v[8:9]
	v_add_u32_e32 v12, 0xa00, v150
	ds_write2_b64 v144, v[54:55], v[8:9] offset0:68 offset1:85
	ds_write2_b64 v144, v[4:5], v[6:7] offset0:102 offset1:119
	;; [unrolled: 1-line block ×3, first 2 shown]
	ds_write_b64 v144, v[46:47] offset:1360
	s_waitcnt lgkmcnt(0)
	s_barrier
	ds_read2_b64 v[20:23], v12 offset0:54 offset1:241
	v_add_u32_e32 v12, 0x1600, v150
	ds_read2_b64 v[8:11], v150 offset1:187
	ds_read2_b64 v[12:15], v12 offset0:44 offset1:231
	v_mov_b32_e32 v36, v76
	v_mov_b32_e32 v37, v76
	;; [unrolled: 1-line block ×3, first 2 shown]
	s_and_saveexec_b64 s[0:1], s[2:3]
	s_cbranch_execz .LBB0_19
; %bb.18:
	v_add_u32_e32 v0, 0x200, v150
	ds_read2_b64 v[4:7], v0 offset0:38 offset1:225
	v_add_u32_e32 v0, 0xe00, v150
	v_add_u32_e32 v38, 0x1a00, v150
	ds_read2_b64 v[0:3], v0 offset0:28 offset1:215
	ds_read2_b64 v[46:49], v38 offset0:18 offset1:205
.LBB0_19:
	s_or_b64 exec, exec, s[0:1]
	s_waitcnt lgkmcnt(1)
	v_pk_mul_f32 v[32:33], v[32:33], v[10:11]
	v_pk_mul_f32 v[34:35], v[34:35], v[20:21]
	;; [unrolled: 1-line block ×3, first 2 shown]
	v_pk_fma_f32 v[52:53], v[50:51], v[10:11], v[32:33] op_sel:[0,0,1] op_sel_hi:[1,1,0]
	v_pk_fma_f32 v[10:11], v[50:51], v[10:11], v[32:33] op_sel:[0,0,1] op_sel_hi:[1,1,0] neg_lo:[0,0,1] neg_hi:[0,0,1]
	v_pk_fma_f32 v[32:33], v[44:45], v[20:21], v[34:35] op_sel:[0,0,1] op_sel_hi:[1,1,0]
	v_pk_fma_f32 v[20:21], v[44:45], v[20:21], v[34:35] op_sel:[0,0,1] op_sel_hi:[1,1,0] neg_lo:[0,0,1] neg_hi:[0,0,1]
	s_waitcnt lgkmcnt(0)
	v_pk_mul_f32 v[30:31], v[30:31], v[12:13]
	v_mov_b32_e32 v33, v21
	v_pk_fma_f32 v[20:21], v[42:43], v[22:23], v[28:29] op_sel:[0,0,1] op_sel_hi:[1,1,0]
	v_pk_fma_f32 v[22:23], v[42:43], v[22:23], v[28:29] op_sel:[0,0,1] op_sel_hi:[1,1,0] neg_lo:[0,0,1] neg_hi:[0,0,1]
	v_pk_mul_f32 v[38:39], v[76:77], v[14:15]
	v_mov_b32_e32 v21, v23
	v_pk_fma_f32 v[22:23], v[40:41], v[12:13], v[30:31] op_sel:[0,0,1] op_sel_hi:[1,1,0]
	v_pk_fma_f32 v[12:13], v[40:41], v[12:13], v[30:31] op_sel:[0,0,1] op_sel_hi:[1,1,0] neg_lo:[0,0,1] neg_hi:[0,0,1]
	s_mov_b32 s6, 0.5
	v_mov_b32_e32 v23, v13
	v_pk_fma_f32 v[12:13], v[36:37], v[14:15], v[38:39] op_sel:[0,0,1] op_sel_hi:[1,1,0]
	v_pk_fma_f32 v[14:15], v[36:37], v[14:15], v[38:39] op_sel:[0,0,1] op_sel_hi:[1,1,0] neg_lo:[0,0,1] neg_hi:[0,0,1]
	v_mov_b32_e32 v53, v11
	v_mov_b32_e32 v13, v15
	v_pk_add_f32 v[14:15], v[8:9], v[32:33]
	v_pk_add_f32 v[28:29], v[20:21], v[12:13]
	s_mov_b32 s7, 0x3f5db3d7
	v_pk_add_f32 v[14:15], v[14:15], v[22:23]
	v_mov_b32_e32 v10, v52
	v_pk_add_f32 v[30:31], v[20:21], v[12:13] neg_lo:[0,1] neg_hi:[0,1]
	v_pk_add_f32 v[20:21], v[52:53], v[20:21]
	v_fmac_f32_e32 v11, -0.5, v29
	v_pk_add_f32 v[34:35], v[32:33], v[22:23]
	v_pk_add_f32 v[22:23], v[32:33], v[22:23] neg_lo:[0,1] neg_hi:[0,1]
	s_mov_b32 s16, s7
	v_fmac_f32_e32 v10, -0.5, v28
	v_pk_add_f32 v[12:13], v[20:21], v[12:13]
	v_fmamk_f32 v20, v30, 0x3f5db3d7, v11
	v_pk_mul_f32 v[22:23], v[22:23], s[16:17] op_sel_hi:[1,0]
	s_mov_b32 s17, s6
	v_fmamk_f32 v28, v31, 0xbf5db3d7, v10
	v_pk_fma_f32 v[8:9], -0.5, v[34:35], v[8:9] op_sel_hi:[0,1,1]
	v_pk_mul_f32 v[20:21], v[20:21], s[16:17] op_sel_hi:[0,1]
	v_pk_add_f32 v[32:33], v[8:9], v[22:23] op_sel:[0,1] op_sel_hi:[1,0] neg_lo:[0,1] neg_hi:[0,1]
	v_pk_add_f32 v[8:9], v[8:9], v[22:23] op_sel:[0,1] op_sel_hi:[1,0]
	v_pk_fma_f32 v[34:35], v[28:29], s[6:7], v[20:21] neg_lo:[0,0,1] neg_hi:[0,0,1]
	v_pk_fma_f32 v[20:21], v[28:29], s[6:7], v[20:21] op_sel_hi:[0,1,1]
	v_mov_b32_e32 v22, v32
	v_mov_b32_e32 v23, v9
	;; [unrolled: 1-line block ×3, first 2 shown]
	v_fmac_f32_e32 v10, 0x3f5db3d7, v31
	v_fmac_f32_e32 v11, 0xbf5db3d7, v30
	v_pk_add_f32 v[30:31], v[14:15], v[12:13]
	v_pk_add_f32 v[20:21], v[22:23], v[34:35]
	ds_write2_b64 v151, v[30:31], v[20:21] offset1:187
	v_mov_b32_e32 v20, v11
	s_mov_b32 s0, -0.5
	s_mov_b32 s1, s7
	v_pk_mul_f32 v[20:21], v[20:21], s[16:17] op_sel_hi:[0,1]
	v_pk_fma_f32 v[10:11], v[10:11], s[0:1], v[20:21] op_sel_hi:[0,1,1] neg_lo:[0,0,1] neg_hi:[0,0,1]
	v_mov_b32_e32 v9, v33
	v_pk_add_f32 v[20:21], v[8:9], v[10:11]
	v_pk_add_f32 v[12:13], v[14:15], v[12:13] neg_lo:[0,1] neg_hi:[0,1]
	v_add_u32_e32 v14, 0xa00, v151
	ds_write2_b64 v14, v[20:21], v[12:13] offset0:54 offset1:241
	v_pk_add_f32 v[12:13], v[22:23], v[34:35] neg_lo:[0,1] neg_hi:[0,1]
	v_pk_add_f32 v[8:9], v[8:9], v[10:11] neg_lo:[0,1] neg_hi:[0,1]
	v_add_u32_e32 v10, 0x1600, v151
	ds_write2_b64 v10, v[12:13], v[8:9] offset0:44 offset1:231
	s_and_saveexec_b64 s[18:19], s[2:3]
	s_cbranch_execz .LBB0_21
; %bb.20:
	v_pk_mul_f32 v[8:9], v[18:19], v[0:1] op_sel:[0,1]
	v_pk_mul_f32 v[10:11], v[26:27], v[46:47] op_sel:[0,1]
	v_pk_fma_f32 v[22:23], v[18:19], v[0:1], v[8:9] op_sel:[0,0,1] op_sel_hi:[1,1,0]
	v_pk_fma_f32 v[0:1], v[18:19], v[0:1], v[8:9] op_sel:[0,0,1] op_sel_hi:[1,0,0] neg_lo:[1,0,0] neg_hi:[1,0,0]
	v_pk_mul_f32 v[14:15], v[24:25], v[2:3] op_sel:[0,1]
	v_mov_b32_e32 v23, v1
	v_pk_fma_f32 v[0:1], v[26:27], v[46:47], v[10:11] op_sel:[0,0,1] op_sel_hi:[1,1,0]
	v_pk_fma_f32 v[8:9], v[26:27], v[46:47], v[10:11] op_sel:[0,0,1] op_sel_hi:[1,0,0] neg_lo:[1,0,0] neg_hi:[1,0,0]
	v_pk_mul_f32 v[20:21], v[158:159], v[48:49] op_sel:[0,1]
	v_mov_b32_e32 v1, v9
	;; [unrolled: 4-line block ×3, first 2 shown]
	v_pk_fma_f32 v[2:3], v[158:159], v[48:49], v[20:21] op_sel:[0,0,1] op_sel_hi:[1,1,0]
	v_pk_fma_f32 v[10:11], v[158:159], v[48:49], v[20:21] op_sel:[0,0,1] op_sel_hi:[1,0,0] neg_lo:[1,0,0] neg_hi:[1,0,0]
	v_pk_fma_f32 v[14:15], v[16:17], v[6:7], v[12:13] op_sel:[0,0,1] op_sel_hi:[1,0,0]
	v_mov_b32_e32 v3, v11
	v_pk_fma_f32 v[6:7], v[16:17], v[6:7], v[12:13] op_sel:[0,0,1] op_sel_hi:[1,0,0] neg_lo:[1,0,0] neg_hi:[1,0,0]
	v_pk_add_f32 v[10:11], v[8:9], v[2:3]
	v_mov_b32_e32 v6, v14
	v_mov_b32_e32 v15, v7
	v_fmac_f32_e32 v6, -0.5, v10
	v_pk_add_f32 v[12:13], v[8:9], v[2:3] neg_lo:[0,1] neg_hi:[0,1]
	v_fmac_f32_e32 v7, -0.5, v11
	v_fmamk_f32 v10, v13, 0x3f5db3d7, v6
	v_fmamk_f32 v16, v12, 0xbf5db3d7, v7
	v_fmac_f32_e32 v6, 0xbf5db3d7, v13
	v_fmac_f32_e32 v7, 0x3f5db3d7, v12
	v_pk_add_f32 v[12:13], v[22:23], v[4:5]
	v_pk_add_f32 v[8:9], v[8:9], v[14:15]
	;; [unrolled: 1-line block ×4, first 2 shown]
	v_pk_add_f32 v[0:1], v[22:23], v[0:1] neg_lo:[0,1] neg_hi:[0,1]
	s_mov_b32 s2, s7
	v_pk_fma_f32 v[4:5], -0.5, v[14:15], v[4:5] op_sel_hi:[0,1,1]
	v_pk_mul_f32 v[0:1], v[0:1], s[2:3] op_sel_hi:[1,0]
	v_pk_add_f32 v[2:3], v[2:3], v[8:9]
	v_pk_add_f32 v[14:15], v[4:5], v[0:1] op_sel:[0,1] op_sel_hi:[1,0] neg_lo:[0,1] neg_hi:[0,1]
	v_pk_add_f32 v[0:1], v[4:5], v[0:1] op_sel:[0,1] op_sel_hi:[1,0]
	v_mov_b32_e32 v4, v14
	v_mov_b32_e32 v14, v7
	v_pk_mul_f32 v[18:19], v[14:15], s[16:17] op_sel_hi:[0,1]
	v_pk_fma_f32 v[20:21], v[6:7], s[6:7], v[18:19] neg_lo:[0,0,1] neg_hi:[0,0,1]
	v_pk_fma_f32 v[6:7], v[6:7], s[6:7], v[18:19] op_sel_hi:[0,1,1]
	v_mov_b32_e32 v5, v1
	v_mov_b32_e32 v21, v7
	v_pk_add_f32 v[8:9], v[12:13], v[2:3]
	v_pk_add_f32 v[6:7], v[4:5], v[20:21]
	v_add_u32_e32 v1, 0x200, v151
	ds_write2_b64 v1, v[8:9], v[6:7] offset0:38 offset1:225
	v_pk_mul_f32 v[6:7], v[16:17], s[16:17] op_sel_hi:[0,1]
	v_pk_fma_f32 v[6:7], v[10:11], s[0:1], v[6:7] op_sel_hi:[0,1,1] neg_lo:[0,0,1] neg_hi:[0,0,1]
	v_mov_b32_e32 v1, v15
	v_pk_add_f32 v[8:9], v[0:1], v[6:7]
	v_pk_add_f32 v[2:3], v[12:13], v[2:3] neg_lo:[0,1] neg_hi:[0,1]
	v_add_u32_e32 v10, 0xe00, v151
	ds_write2_b64 v10, v[8:9], v[2:3] offset0:28 offset1:215
	v_pk_add_f32 v[2:3], v[4:5], v[20:21] neg_lo:[0,1] neg_hi:[0,1]
	v_pk_add_f32 v[0:1], v[0:1], v[6:7] neg_lo:[0,1] neg_hi:[0,1]
	v_add_u32_e32 v4, 0x1a00, v151
	ds_write2_b64 v4, v[2:3], v[0:1] offset0:18 offset1:205
.LBB0_21:
	s_or_b64 exec, exec, s[18:19]
	s_waitcnt lgkmcnt(0)
	s_barrier
	s_and_b64 exec, exec, s[4:5]
	s_cbranch_execz .LBB0_23
; %bb.22:
	global_load_dwordx2 v[0:1], v70, s[12:13]
	v_mad_u64_u32 v[4:5], s[0:1], s10, v184, 0
	ds_read_b64 v[6:7], v151
	v_mad_u64_u32 v[8:9], s[2:3], s8, v185, 0
	v_mov_b32_e32 v10, v5
	v_mov_b32_e32 v12, v9
	v_mad_u64_u32 v[10:11], s[2:3], s11, v184, v[10:11]
	v_mov_b32_e32 v2, s14
	v_mov_b32_e32 v3, s15
	;; [unrolled: 3-line block ×3, first 2 shown]
	v_lshl_add_u64 v[2:3], v[4:5], 3, v[2:3]
	v_lshl_add_u64 v[4:5], v[8:9], 3, v[2:3]
	s_mov_b32 s0, 0x4bc01d34
	s_mov_b32 s1, 0x3f4d347a
	v_mov_b32_e32 v12, 0x210
	s_mul_i32 s2, s9, 0x210
	v_mov_b32_e32 v71, 0
	s_movk_i32 s3, 0x1000
	s_waitcnt vmcnt(0) lgkmcnt(0)
	v_mul_f32_e32 v2, v7, v1
	v_mul_f32_e32 v1, v6, v1
	v_fmac_f32_e32 v2, v6, v0
	v_fma_f32 v3, v0, v7, -v1
	v_cvt_f64_f32_e32 v[0:1], v2
	v_cvt_f64_f32_e32 v[2:3], v3
	v_mul_f64 v[0:1], v[0:1], s[0:1]
	v_mul_f64 v[2:3], v[2:3], s[0:1]
	v_cvt_f32_f64_e32 v0, v[0:1]
	v_cvt_f32_f64_e32 v1, v[2:3]
	global_store_dwordx2 v[4:5], v[0:1], off
	global_load_dwordx2 v[6:7], v70, s[12:13] offset:528
	ds_read2_b64 v[0:3], v151 offset0:66 offset1:132
	v_mad_u64_u32 v[4:5], s[4:5], s8, v12, v[4:5]
	v_add_u32_e32 v5, s2, v5
	s_waitcnt vmcnt(0) lgkmcnt(0)
	v_mul_f32_e32 v8, v1, v7
	v_mul_f32_e32 v7, v0, v7
	v_fmac_f32_e32 v8, v0, v6
	v_fma_f32 v6, v6, v1, -v7
	v_cvt_f64_f32_e32 v[0:1], v8
	v_cvt_f64_f32_e32 v[6:7], v6
	v_mul_f64 v[0:1], v[0:1], s[0:1]
	v_mul_f64 v[6:7], v[6:7], s[0:1]
	v_cvt_f32_f64_e32 v0, v[0:1]
	v_cvt_f32_f64_e32 v1, v[6:7]
	global_store_dwordx2 v[4:5], v[0:1], off
	global_load_dwordx2 v[0:1], v70, s[12:13] offset:1056
	v_mad_u64_u32 v[4:5], s[4:5], s8, v12, v[4:5]
	v_add_u32_e32 v5, s2, v5
	s_waitcnt vmcnt(0)
	v_mul_f32_e32 v6, v3, v1
	v_mul_f32_e32 v1, v2, v1
	v_fmac_f32_e32 v6, v2, v0
	v_fma_f32 v2, v0, v3, -v1
	v_cvt_f64_f32_e32 v[0:1], v6
	v_cvt_f64_f32_e32 v[2:3], v2
	v_mul_f64 v[0:1], v[0:1], s[0:1]
	v_mul_f64 v[2:3], v[2:3], s[0:1]
	v_cvt_f32_f64_e32 v0, v[0:1]
	v_cvt_f32_f64_e32 v1, v[2:3]
	global_store_dwordx2 v[4:5], v[0:1], off
	global_load_dwordx2 v[6:7], v70, s[12:13] offset:1584
	v_add_u32_e32 v0, 0x400, v151
	ds_read2_b64 v[0:3], v0 offset0:70 offset1:136
	v_mad_u64_u32 v[4:5], s[4:5], s8, v12, v[4:5]
	v_add_u32_e32 v5, s2, v5
	s_waitcnt vmcnt(0) lgkmcnt(0)
	v_mul_f32_e32 v8, v1, v7
	v_mul_f32_e32 v7, v0, v7
	v_fmac_f32_e32 v8, v0, v6
	v_fma_f32 v6, v6, v1, -v7
	v_cvt_f64_f32_e32 v[0:1], v8
	v_cvt_f64_f32_e32 v[6:7], v6
	v_mul_f64 v[0:1], v[0:1], s[0:1]
	v_mul_f64 v[6:7], v[6:7], s[0:1]
	v_cvt_f32_f64_e32 v0, v[0:1]
	v_cvt_f32_f64_e32 v1, v[6:7]
	global_store_dwordx2 v[4:5], v[0:1], off
	global_load_dwordx2 v[0:1], v70, s[12:13] offset:2112
	v_mad_u64_u32 v[4:5], s[4:5], s8, v12, v[4:5]
	v_add_u32_e32 v5, s2, v5
	s_waitcnt vmcnt(0)
	v_mul_f32_e32 v6, v3, v1
	v_mul_f32_e32 v1, v2, v1
	v_fmac_f32_e32 v6, v2, v0
	v_fma_f32 v2, v0, v3, -v1
	v_cvt_f64_f32_e32 v[0:1], v6
	v_cvt_f64_f32_e32 v[2:3], v2
	v_mul_f64 v[0:1], v[0:1], s[0:1]
	v_mul_f64 v[2:3], v[2:3], s[0:1]
	v_cvt_f32_f64_e32 v0, v[0:1]
	v_cvt_f32_f64_e32 v1, v[2:3]
	global_store_dwordx2 v[4:5], v[0:1], off
	global_load_dwordx2 v[6:7], v70, s[12:13] offset:2640
	v_add_u32_e32 v0, 0x800, v151
	;; [unrolled: 32-line block ×3, first 2 shown]
	ds_read2_b64 v[2:5], v2 offset0:78 offset1:144
	v_lshl_add_u64 v[0:1], s[12:13], 0, v[70:71]
	v_mad_u64_u32 v[6:7], s[4:5], s8, v12, v[6:7]
	v_add_co_u32_e32 v10, vcc, s3, v0
	v_add_u32_e32 v7, s2, v7
	s_nop 0
	v_addc_co_u32_e32 v11, vcc, 0, v1, vcc
	s_movk_i32 s3, 0x2000
	v_add_co_u32_e32 v0, vcc, s3, v0
	s_waitcnt vmcnt(0) lgkmcnt(0)
	v_mul_f32_e32 v13, v3, v9
	v_mul_f32_e32 v9, v2, v9
	v_fmac_f32_e32 v13, v2, v8
	v_fma_f32 v8, v8, v3, -v9
	v_cvt_f64_f32_e32 v[2:3], v13
	v_cvt_f64_f32_e32 v[8:9], v8
	v_mul_f64 v[2:3], v[2:3], s[0:1]
	v_mul_f64 v[8:9], v[8:9], s[0:1]
	v_cvt_f32_f64_e32 v2, v[2:3]
	v_cvt_f32_f64_e32 v3, v[8:9]
	global_store_dwordx2 v[6:7], v[2:3], off
	global_load_dwordx2 v[2:3], v[10:11], off offset:128
	v_mad_u64_u32 v[6:7], s[4:5], s8, v12, v[6:7]
	v_add_u32_e32 v7, s2, v7
	v_addc_co_u32_e32 v1, vcc, 0, v1, vcc
	s_waitcnt vmcnt(0)
	v_mul_f32_e32 v8, v5, v3
	v_mul_f32_e32 v3, v4, v3
	v_fmac_f32_e32 v8, v4, v2
	v_fma_f32 v4, v2, v5, -v3
	v_cvt_f64_f32_e32 v[2:3], v8
	v_cvt_f64_f32_e32 v[4:5], v4
	v_mul_f64 v[2:3], v[2:3], s[0:1]
	v_mul_f64 v[4:5], v[4:5], s[0:1]
	v_cvt_f32_f64_e32 v2, v[2:3]
	v_cvt_f32_f64_e32 v3, v[4:5]
	global_store_dwordx2 v[6:7], v[2:3], off
	global_load_dwordx2 v[8:9], v[10:11], off offset:656
	v_add_u32_e32 v2, 0x1000, v151
	ds_read2_b64 v[2:5], v2 offset0:82 offset1:148
	v_mad_u64_u32 v[6:7], s[4:5], s8, v12, v[6:7]
	v_add_u32_e32 v7, s2, v7
	s_waitcnt vmcnt(0) lgkmcnt(0)
	v_mul_f32_e32 v13, v3, v9
	v_mul_f32_e32 v9, v2, v9
	v_fmac_f32_e32 v13, v2, v8
	v_fma_f32 v8, v8, v3, -v9
	v_cvt_f64_f32_e32 v[2:3], v13
	v_cvt_f64_f32_e32 v[8:9], v8
	v_mul_f64 v[2:3], v[2:3], s[0:1]
	v_mul_f64 v[8:9], v[8:9], s[0:1]
	v_cvt_f32_f64_e32 v2, v[2:3]
	v_cvt_f32_f64_e32 v3, v[8:9]
	global_store_dwordx2 v[6:7], v[2:3], off
	global_load_dwordx2 v[2:3], v[10:11], off offset:1184
	v_mad_u64_u32 v[6:7], s[4:5], s8, v12, v[6:7]
	v_add_u32_e32 v7, s2, v7
	s_waitcnt vmcnt(0)
	v_mul_f32_e32 v8, v5, v3
	v_mul_f32_e32 v3, v4, v3
	v_fmac_f32_e32 v8, v4, v2
	v_fma_f32 v4, v2, v5, -v3
	v_cvt_f64_f32_e32 v[2:3], v8
	v_cvt_f64_f32_e32 v[4:5], v4
	v_mul_f64 v[2:3], v[2:3], s[0:1]
	v_mul_f64 v[4:5], v[4:5], s[0:1]
	v_cvt_f32_f64_e32 v2, v[2:3]
	v_cvt_f32_f64_e32 v3, v[4:5]
	global_store_dwordx2 v[6:7], v[2:3], off
	global_load_dwordx2 v[8:9], v[10:11], off offset:1712
	v_add_u32_e32 v2, 0x1400, v151
	ds_read2_b64 v[2:5], v2 offset0:86 offset1:152
	v_mad_u64_u32 v[6:7], s[4:5], s8, v12, v[6:7]
	v_add_u32_e32 v7, s2, v7
	s_waitcnt vmcnt(0) lgkmcnt(0)
	v_mul_f32_e32 v13, v3, v9
	v_mul_f32_e32 v9, v2, v9
	v_fmac_f32_e32 v13, v2, v8
	v_fma_f32 v8, v8, v3, -v9
	v_cvt_f64_f32_e32 v[2:3], v13
	v_cvt_f64_f32_e32 v[8:9], v8
	v_mul_f64 v[2:3], v[2:3], s[0:1]
	v_mul_f64 v[8:9], v[8:9], s[0:1]
	v_cvt_f32_f64_e32 v2, v[2:3]
	v_cvt_f32_f64_e32 v3, v[8:9]
	global_store_dwordx2 v[6:7], v[2:3], off
	global_load_dwordx2 v[2:3], v[10:11], off offset:2240
	v_mad_u64_u32 v[6:7], s[4:5], s8, v12, v[6:7]
	v_add_u32_e32 v7, s2, v7
	;; [unrolled: 32-line block ×4, first 2 shown]
	s_waitcnt vmcnt(0)
	v_mul_f32_e32 v6, v5, v1
	v_mul_f32_e32 v1, v4, v1
	v_fmac_f32_e32 v6, v4, v0
	v_fma_f32 v4, v0, v5, -v1
	v_cvt_f64_f32_e32 v[0:1], v6
	v_cvt_f64_f32_e32 v[4:5], v4
	v_mul_f64 v[0:1], v[0:1], s[0:1]
	v_mul_f64 v[4:5], v[4:5], s[0:1]
	v_cvt_f32_f64_e32 v0, v[0:1]
	v_cvt_f32_f64_e32 v1, v[4:5]
	global_store_dwordx2 v[2:3], v[0:1], off
.LBB0_23:
	s_endpgm
	.section	.rodata,"a",@progbits
	.p2align	6, 0x0
	.amdhsa_kernel bluestein_single_fwd_len1122_dim1_sp_op_CI_CI
		.amdhsa_group_segment_fixed_size 17952
		.amdhsa_private_segment_fixed_size 0
		.amdhsa_kernarg_size 104
		.amdhsa_user_sgpr_count 2
		.amdhsa_user_sgpr_dispatch_ptr 0
		.amdhsa_user_sgpr_queue_ptr 0
		.amdhsa_user_sgpr_kernarg_segment_ptr 1
		.amdhsa_user_sgpr_dispatch_id 0
		.amdhsa_user_sgpr_kernarg_preload_length 0
		.amdhsa_user_sgpr_kernarg_preload_offset 0
		.amdhsa_user_sgpr_private_segment_size 0
		.amdhsa_uses_dynamic_stack 0
		.amdhsa_enable_private_segment 0
		.amdhsa_system_sgpr_workgroup_id_x 1
		.amdhsa_system_sgpr_workgroup_id_y 0
		.amdhsa_system_sgpr_workgroup_id_z 0
		.amdhsa_system_sgpr_workgroup_info 0
		.amdhsa_system_vgpr_workitem_id 0
		.amdhsa_next_free_vgpr 306
		.amdhsa_next_free_sgpr 78
		.amdhsa_accum_offset 256
		.amdhsa_reserve_vcc 1
		.amdhsa_float_round_mode_32 0
		.amdhsa_float_round_mode_16_64 0
		.amdhsa_float_denorm_mode_32 3
		.amdhsa_float_denorm_mode_16_64 3
		.amdhsa_dx10_clamp 1
		.amdhsa_ieee_mode 1
		.amdhsa_fp16_overflow 0
		.amdhsa_tg_split 0
		.amdhsa_exception_fp_ieee_invalid_op 0
		.amdhsa_exception_fp_denorm_src 0
		.amdhsa_exception_fp_ieee_div_zero 0
		.amdhsa_exception_fp_ieee_overflow 0
		.amdhsa_exception_fp_ieee_underflow 0
		.amdhsa_exception_fp_ieee_inexact 0
		.amdhsa_exception_int_div_zero 0
	.end_amdhsa_kernel
	.text
.Lfunc_end0:
	.size	bluestein_single_fwd_len1122_dim1_sp_op_CI_CI, .Lfunc_end0-bluestein_single_fwd_len1122_dim1_sp_op_CI_CI
                                        ; -- End function
	.section	.AMDGPU.csdata,"",@progbits
; Kernel info:
; codeLenInByte = 20400
; NumSgprs: 84
; NumVgprs: 256
; NumAgprs: 50
; TotalNumVgprs: 306
; ScratchSize: 0
; MemoryBound: 0
; FloatMode: 240
; IeeeMode: 1
; LDSByteSize: 17952 bytes/workgroup (compile time only)
; SGPRBlocks: 10
; VGPRBlocks: 38
; NumSGPRsForWavesPerEU: 84
; NumVGPRsForWavesPerEU: 306
; AccumOffset: 256
; Occupancy: 1
; WaveLimiterHint : 1
; COMPUTE_PGM_RSRC2:SCRATCH_EN: 0
; COMPUTE_PGM_RSRC2:USER_SGPR: 2
; COMPUTE_PGM_RSRC2:TRAP_HANDLER: 0
; COMPUTE_PGM_RSRC2:TGID_X_EN: 1
; COMPUTE_PGM_RSRC2:TGID_Y_EN: 0
; COMPUTE_PGM_RSRC2:TGID_Z_EN: 0
; COMPUTE_PGM_RSRC2:TIDIG_COMP_CNT: 0
; COMPUTE_PGM_RSRC3_GFX90A:ACCUM_OFFSET: 63
; COMPUTE_PGM_RSRC3_GFX90A:TG_SPLIT: 0
	.text
	.p2alignl 6, 3212836864
	.fill 256, 4, 3212836864
	.type	__hip_cuid_7ac1e5ba23b72b28,@object ; @__hip_cuid_7ac1e5ba23b72b28
	.section	.bss,"aw",@nobits
	.globl	__hip_cuid_7ac1e5ba23b72b28
__hip_cuid_7ac1e5ba23b72b28:
	.byte	0                               ; 0x0
	.size	__hip_cuid_7ac1e5ba23b72b28, 1

	.ident	"AMD clang version 19.0.0git (https://github.com/RadeonOpenCompute/llvm-project roc-6.4.0 25133 c7fe45cf4b819c5991fe208aaa96edf142730f1d)"
	.section	".note.GNU-stack","",@progbits
	.addrsig
	.addrsig_sym __hip_cuid_7ac1e5ba23b72b28
	.amdgpu_metadata
---
amdhsa.kernels:
  - .agpr_count:     50
    .args:
      - .actual_access:  read_only
        .address_space:  global
        .offset:         0
        .size:           8
        .value_kind:     global_buffer
      - .actual_access:  read_only
        .address_space:  global
        .offset:         8
        .size:           8
        .value_kind:     global_buffer
      - .actual_access:  read_only
        .address_space:  global
        .offset:         16
        .size:           8
        .value_kind:     global_buffer
      - .actual_access:  read_only
        .address_space:  global
        .offset:         24
        .size:           8
        .value_kind:     global_buffer
      - .actual_access:  read_only
        .address_space:  global
        .offset:         32
        .size:           8
        .value_kind:     global_buffer
      - .offset:         40
        .size:           8
        .value_kind:     by_value
      - .address_space:  global
        .offset:         48
        .size:           8
        .value_kind:     global_buffer
      - .address_space:  global
        .offset:         56
        .size:           8
        .value_kind:     global_buffer
      - .address_space:  global
        .offset:         64
        .size:           8
        .value_kind:     global_buffer
      - .address_space:  global
        .offset:         72
        .size:           8
        .value_kind:     global_buffer
      - .offset:         80
        .size:           4
        .value_kind:     by_value
      - .address_space:  global
        .offset:         88
        .size:           8
        .value_kind:     global_buffer
      - .address_space:  global
        .offset:         96
        .size:           8
        .value_kind:     global_buffer
    .group_segment_fixed_size: 17952
    .kernarg_segment_align: 8
    .kernarg_segment_size: 104
    .language:       OpenCL C
    .language_version:
      - 2
      - 0
    .max_flat_workgroup_size: 204
    .name:           bluestein_single_fwd_len1122_dim1_sp_op_CI_CI
    .private_segment_fixed_size: 0
    .sgpr_count:     84
    .sgpr_spill_count: 0
    .symbol:         bluestein_single_fwd_len1122_dim1_sp_op_CI_CI.kd
    .uniform_work_group_size: 1
    .uses_dynamic_stack: false
    .vgpr_count:     306
    .vgpr_spill_count: 0
    .wavefront_size: 64
amdhsa.target:   amdgcn-amd-amdhsa--gfx950
amdhsa.version:
  - 1
  - 2
...

	.end_amdgpu_metadata
